;; amdgpu-corpus repo=ROCm/rocFFT kind=compiled arch=gfx1201 opt=O3
	.text
	.amdgcn_target "amdgcn-amd-amdhsa--gfx1201"
	.amdhsa_code_object_version 6
	.protected	bluestein_single_back_len170_dim1_sp_op_CI_CI ; -- Begin function bluestein_single_back_len170_dim1_sp_op_CI_CI
	.globl	bluestein_single_back_len170_dim1_sp_op_CI_CI
	.p2align	8
	.type	bluestein_single_back_len170_dim1_sp_op_CI_CI,@function
bluestein_single_back_len170_dim1_sp_op_CI_CI: ; @bluestein_single_back_len170_dim1_sp_op_CI_CI
; %bb.0:
	s_load_b128 s[4:7], s[0:1], 0x28
	v_mul_u32_u24_e32 v1, 0xf10, v0
	s_mov_b32 s2, exec_lo
	s_delay_alu instid0(VALU_DEP_1) | instskip(NEXT) | instid1(VALU_DEP_1)
	v_lshrrev_b32_e32 v1, 16, v1
	v_mad_co_u64_u32 v[48:49], null, ttmp9, 7, v[1:2]
	v_mov_b32_e32 v49, 0
	s_wait_kmcnt 0x0
	s_delay_alu instid0(VALU_DEP_1)
	v_cmpx_gt_u64_e64 s[4:5], v[48:49]
	s_cbranch_execz .LBB0_15
; %bb.1:
	v_mul_hi_u32 v2, 0x24924925, v48
	v_mul_lo_u16 v1, v1, 17
	s_clause 0x1
	s_load_b64 s[4:5], s[0:1], 0x0
	s_load_b64 s[12:13], s[0:1], 0x38
	s_delay_alu instid0(VALU_DEP_1) | instskip(NEXT) | instid1(VALU_DEP_3)
	v_sub_nc_u16 v0, v0, v1
	v_sub_nc_u32_e32 v3, v48, v2
	s_delay_alu instid0(VALU_DEP_2) | instskip(SKIP_1) | instid1(VALU_DEP_3)
	v_and_b32_e32 v70, 0xffff, v0
	v_cmp_gt_u16_e32 vcc_lo, 10, v0
	v_lshrrev_b32_e32 v3, 1, v3
	s_delay_alu instid0(VALU_DEP_3) | instskip(SKIP_1) | instid1(VALU_DEP_3)
	v_lshlrev_b32_e32 v68, 3, v70
	v_or_b32_e32 v69, 0x50, v70
	v_add_nc_u32_e32 v2, v3, v2
	v_or_b32_e32 v67, 0xa0, v70
	s_delay_alu instid0(VALU_DEP_2) | instskip(NEXT) | instid1(VALU_DEP_1)
	v_lshrrev_b32_e32 v2, 2, v2
	v_mul_lo_u32 v2, v2, 7
	s_delay_alu instid0(VALU_DEP_1) | instskip(NEXT) | instid1(VALU_DEP_1)
	v_sub_nc_u32_e32 v1, v48, v2
	v_mul_u32_u24_e32 v53, 0xaa, v1
	s_delay_alu instid0(VALU_DEP_1)
	v_lshlrev_b32_e32 v71, 3, v53
	s_and_saveexec_b32 s3, vcc_lo
	s_cbranch_execz .LBB0_3
; %bb.2:
	s_load_b64 s[8:9], s[0:1], 0x18
	s_wait_kmcnt 0x0
	s_load_b128 s[8:11], s[8:9], 0x0
	s_clause 0x1
	global_load_b64 v[10:11], v68, s[4:5]
	global_load_b64 v[12:13], v68, s[4:5] offset:640
	s_wait_kmcnt 0x0
	v_mad_co_u64_u32 v[0:1], null, s10, v48, 0
	v_mad_co_u64_u32 v[2:3], null, s8, v70, 0
	;; [unrolled: 1-line block ×3, first 2 shown]
	s_delay_alu instid0(VALU_DEP_2) | instskip(SKIP_1) | instid1(VALU_DEP_1)
	v_mad_co_u64_u32 v[4:5], null, s11, v48, v[1:2]
	s_mul_u64 s[10:11], s[8:9], 0x50
	v_mad_co_u64_u32 v[5:6], null, s9, v70, v[3:4]
	v_mad_co_u64_u32 v[6:7], null, s8, v69, 0
	v_mov_b32_e32 v1, v4
	s_delay_alu instid0(VALU_DEP_3) | instskip(NEXT) | instid1(VALU_DEP_3)
	v_mov_b32_e32 v3, v5
	v_dual_mov_b32 v5, v9 :: v_dual_mov_b32 v4, v7
	s_delay_alu instid0(VALU_DEP_3) | instskip(NEXT) | instid1(VALU_DEP_3)
	v_lshlrev_b64_e32 v[0:1], 3, v[0:1]
	v_lshlrev_b64_e32 v[2:3], 3, v[2:3]
	s_delay_alu instid0(VALU_DEP_2) | instskip(NEXT) | instid1(VALU_DEP_1)
	v_add_co_u32 v24, s2, s6, v0
	v_add_co_ci_u32_e64 v25, s2, s7, v1, s2
	v_mad_co_u64_u32 v[0:1], null, s9, v69, v[4:5]
	s_delay_alu instid0(VALU_DEP_3) | instskip(SKIP_1) | instid1(VALU_DEP_3)
	v_add_co_u32 v1, s2, v24, v2
	s_wait_alu 0xf1ff
	v_add_co_ci_u32_e64 v2, s2, v25, v3, s2
	v_mad_co_u64_u32 v[3:4], null, s9, v67, v[5:6]
	s_wait_alu 0xfffe
	v_add_co_u32 v4, s2, v1, s10
	s_wait_alu 0xf1ff
	v_add_co_ci_u32_e64 v5, s2, s11, v2, s2
	v_mov_b32_e32 v7, v0
	s_delay_alu instid0(VALU_DEP_3) | instskip(SKIP_1) | instid1(VALU_DEP_3)
	v_add_co_u32 v14, s2, v4, s10
	s_wait_alu 0xf1ff
	v_add_co_ci_u32_e64 v15, s2, s11, v5, s2
	s_delay_alu instid0(VALU_DEP_3) | instskip(NEXT) | instid1(VALU_DEP_3)
	v_lshlrev_b64_e32 v[6:7], 3, v[6:7]
	v_add_co_u32 v16, s2, v14, s10
	s_wait_alu 0xf1ff
	s_delay_alu instid0(VALU_DEP_3) | instskip(SKIP_1) | instid1(VALU_DEP_3)
	v_add_co_ci_u32_e64 v17, s2, s11, v15, s2
	v_mov_b32_e32 v9, v3
	v_add_co_u32 v18, s2, v16, s10
	s_wait_alu 0xf1ff
	s_delay_alu instid0(VALU_DEP_3) | instskip(NEXT) | instid1(VALU_DEP_3)
	v_add_co_ci_u32_e64 v19, s2, s11, v17, s2
	v_lshlrev_b64_e32 v[8:9], 3, v[8:9]
	s_delay_alu instid0(VALU_DEP_3) | instskip(SKIP_1) | instid1(VALU_DEP_3)
	v_add_co_u32 v20, s2, v18, s10
	s_wait_alu 0xf1ff
	v_add_co_ci_u32_e64 v21, s2, s11, v19, s2
	v_add_co_u32 v6, s2, v24, v6
	s_wait_alu 0xf1ff
	v_add_co_ci_u32_e64 v7, s2, v25, v7, s2
	v_add_co_u32 v22, s2, v20, s10
	s_wait_alu 0xf1ff
	v_add_co_ci_u32_e64 v23, s2, s11, v21, s2
	v_add_co_u32 v8, s2, v24, v8
	s_wait_alu 0xf1ff
	v_add_co_ci_u32_e64 v9, s2, v25, v9, s2
	global_load_b64 v[0:1], v[1:2], off
	global_load_b64 v[2:3], v68, s[4:5] offset:1280
	s_clause 0x2
	global_load_b64 v[6:7], v[6:7], off
	global_load_b64 v[8:9], v[8:9], off
	;; [unrolled: 1-line block ×3, first 2 shown]
	s_clause 0x2
	global_load_b64 v[28:29], v68, s[4:5] offset:80
	global_load_b64 v[30:31], v68, s[4:5] offset:160
	;; [unrolled: 1-line block ×3, first 2 shown]
	global_load_b64 v[14:15], v[14:15], off
	s_clause 0x3
	global_load_b64 v[34:35], v68, s[4:5] offset:320
	global_load_b64 v[36:37], v68, s[4:5] offset:400
	;; [unrolled: 1-line block ×4, first 2 shown]
	s_clause 0x1
	global_load_b64 v[16:17], v[16:17], off
	global_load_b64 v[18:19], v[18:19], off
	v_add_co_u32 v24, s2, v22, s10
	s_wait_alu 0xf1ff
	v_add_co_ci_u32_e64 v25, s2, s11, v23, s2
	v_add_nc_u32_e32 v47, v71, v68
	s_delay_alu instid0(VALU_DEP_2) | instskip(NEXT) | instid1(VALU_DEP_1)
	v_mad_co_u64_u32 v[26:27], null, 0xa0, s8, v[24:25]
	v_add_co_u32 v56, s2, v26, s10
	s_wait_loadcnt 0x9
	s_delay_alu instid0(VALU_DEP_2)
	v_mad_co_u64_u32 v[42:43], null, 0xa0, s9, v[27:28]
	s_clause 0x4
	global_load_b64 v[43:44], v68, s[4:5] offset:720
	global_load_b64 v[45:46], v68, s[4:5] offset:800
	;; [unrolled: 1-line block ×5, first 2 shown]
	global_load_b64 v[20:21], v[20:21], off
	global_load_b64 v[22:23], v[22:23], off
	;; [unrolled: 1-line block ×3, first 2 shown]
	v_mul_f32_e32 v78, v1, v11
	v_mul_f32_e32 v66, v0, v11
	;; [unrolled: 1-line block ×3, first 2 shown]
	v_mov_b32_e32 v27, v42
	v_mul_f32_e32 v81, v8, v3
	v_fmac_f32_e32 v78, v0, v10
	v_mul_f32_e32 v0, v5, v29
	v_mul_f32_e32 v11, v7, v13
	s_wait_alu 0xf1ff
	v_add_co_ci_u32_e64 v57, s2, s11, v27, s2
	v_add_co_u32 v58, s2, v56, s10
	v_fmac_f32_e32 v0, v4, v28
	s_wait_alu 0xf1ff
	s_delay_alu instid0(VALU_DEP_3) | instskip(NEXT) | instid1(VALU_DEP_3)
	v_add_co_ci_u32_e64 v59, s2, s11, v57, s2
	v_add_co_u32 v60, s2, v58, s10
	global_load_b64 v[26:27], v[26:27], off
	s_wait_alu 0xf1ff
	v_add_co_ci_u32_e64 v61, s2, s11, v59, s2
	v_add_co_u32 v62, s2, v60, s10
	global_load_b64 v[56:57], v[56:57], off
	s_wait_alu 0xf1ff
	;; [unrolled: 4-line block ×4, first 2 shown]
	v_add_co_ci_u32_e64 v73, s2, s11, v65, s2
	global_load_b64 v[62:63], v[62:63], off
	global_load_b64 v[64:65], v[64:65], off
	s_clause 0x1
	global_load_b64 v[74:75], v68, s[4:5] offset:1120
	global_load_b64 v[76:77], v68, s[4:5] offset:1200
	global_load_b64 v[72:73], v[72:73], off
	v_mul_f32_e32 v13, v9, v3
	v_fma_f32 v79, v1, v10, -v66
	v_mul_f32_e32 v1, v4, v29
	s_wait_loadcnt 0x17
	v_mul_f32_e32 v3, v15, v31
	v_mul_f32_e32 v4, v14, v31
	v_fmac_f32_e32 v11, v6, v12
	v_fma_f32 v12, v7, v12, -v80
	s_wait_loadcnt 0x12
	v_mul_f32_e32 v6, v16, v33
	v_fmac_f32_e32 v13, v8, v2
	s_wait_loadcnt 0x11
	v_mul_f32_e32 v7, v19, v35
	v_mul_f32_e32 v8, v18, v35
	v_fma_f32 v1, v5, v28, -v1
	v_mul_f32_e32 v5, v17, v33
	v_lshl_add_u32 v42, v70, 3, v71
	v_fmac_f32_e32 v3, v14, v30
	v_fma_f32 v4, v15, v30, -v4
	v_fma_f32 v6, v17, v32, -v6
	v_fmac_f32_e32 v5, v16, v32
	v_fmac_f32_e32 v7, v18, v34
	v_fma_f32 v8, v19, v34, -v8
	ds_store_b64 v42, v[78:79]
	s_wait_loadcnt 0xb
	v_mul_f32_e32 v14, v21, v37
	v_mul_f32_e32 v10, v20, v37
	s_wait_loadcnt 0xa
	v_mul_f32_e32 v16, v23, v39
	s_wait_loadcnt 0x9
	v_dual_mul_f32 v17, v22, v39 :: v_dual_mul_f32 v18, v25, v41
	ds_store_2addr_b64 v47, v[0:1], v[3:4] offset0:10 offset1:20
	ds_store_2addr_b64 v47, v[5:6], v[7:8] offset0:30 offset1:40
	v_mul_f32_e32 v1, v24, v41
	v_fmac_f32_e32 v14, v20, v36
	v_fma_f32 v15, v21, v36, -v10
	v_fmac_f32_e32 v16, v22, v38
	v_fmac_f32_e32 v18, v24, v40
	s_wait_loadcnt 0x8
	v_mul_f32_e32 v4, v26, v44
	v_mul_f32_e32 v0, v27, v44
	v_fma_f32 v19, v25, v40, -v1
	s_wait_loadcnt 0x7
	v_mul_f32_e32 v3, v57, v46
	v_mul_f32_e32 v6, v56, v46
	v_fma_f32 v17, v23, v38, -v17
	v_fma_f32 v1, v27, v43, -v4
	s_wait_loadcnt 0x6
	v_dual_fmac_f32 v0, v26, v43 :: v_dual_mul_f32 v5, v59, v50
	v_fma_f32 v4, v57, v45, -v6
	v_mul_f32_e32 v6, v58, v50
	ds_store_2addr_b64 v47, v[14:15], v[16:17] offset0:50 offset1:60
	s_wait_loadcnt 0x5
	v_mul_f32_e32 v7, v61, v52
	v_mul_f32_e32 v8, v60, v52
	s_wait_loadcnt 0x2
	v_mul_f32_e32 v14, v64, v75
	v_fmac_f32_e32 v3, v56, v45
	s_wait_loadcnt 0x0
	v_dual_mul_f32 v15, v63, v55 :: v_dual_mul_f32 v22, v73, v77
	v_mul_f32_e32 v10, v62, v55
	v_dual_fmac_f32 v5, v58, v49 :: v_dual_mul_f32 v20, v65, v75
	v_mul_f32_e32 v17, v72, v77
	v_fma_f32 v6, v59, v49, -v6
	v_fmac_f32_e32 v7, v60, v51
	v_fma_f32 v8, v61, v51, -v8
	v_dual_fmac_f32 v15, v62, v54 :: v_dual_fmac_f32 v22, v72, v76
	v_fma_f32 v16, v63, v54, -v10
	v_fmac_f32_e32 v20, v64, v74
	v_fma_f32 v21, v65, v74, -v14
	v_fma_f32 v23, v73, v76, -v17
	;; [unrolled: 1-line block ×3, first 2 shown]
	ds_store_2addr_b64 v47, v[18:19], v[11:12] offset0:70 offset1:80
	ds_store_2addr_b64 v47, v[0:1], v[3:4] offset0:90 offset1:100
	;; [unrolled: 1-line block ×5, first 2 shown]
.LBB0_3:
	s_or_b32 exec_lo, exec_lo, s3
	s_load_b64 s[2:3], s[0:1], 0x20
	v_mov_b32_e32 v12, 0
	v_mov_b32_e32 v13, 0
	global_wb scope:SCOPE_SE
	s_wait_dscnt 0x0
	s_wait_kmcnt 0x0
	s_barrier_signal -1
	s_barrier_wait -1
	global_inv scope:SCOPE_SE
                                        ; implicit-def: $vgpr30
                                        ; implicit-def: $vgpr24
                                        ; implicit-def: $vgpr20
                                        ; implicit-def: $vgpr16
                                        ; implicit-def: $vgpr44
                                        ; implicit-def: $vgpr34
                                        ; implicit-def: $vgpr38
                                        ; implicit-def: $vgpr42
	s_and_saveexec_b32 s6, vcc_lo
	s_cbranch_execz .LBB0_5
; %bb.4:
	v_lshl_add_u32 v0, v53, 3, v68
	ds_load_2addr_b64 v[12:15], v0 offset1:10
	ds_load_2addr_b64 v[40:43], v0 offset0:20 offset1:30
	ds_load_2addr_b64 v[36:39], v0 offset0:40 offset1:50
	;; [unrolled: 1-line block ×7, first 2 shown]
	ds_load_b64 v[44:45], v0 offset:1280
.LBB0_5:
	s_wait_alu 0xfffe
	s_or_b32 exec_lo, exec_lo, s6
	s_wait_dscnt 0x0
	v_dual_sub_f32 v46, v15, v45 :: v_dual_sub_f32 v47, v14, v44
	v_dual_add_f32 v54, v44, v14 :: v_dual_add_f32 v55, v45, v15
	v_dual_add_f32 v56, v18, v40 :: v_dual_sub_f32 v51, v41, v19
	s_delay_alu instid0(VALU_DEP_3) | instskip(SKIP_1) | instid1(VALU_DEP_3)
	v_dual_mul_f32 v60, 0xbeb8f4ab, v46 :: v_dual_mul_f32 v61, 0xbeb8f4ab, v47
	v_dual_sub_f32 v52, v40, v18 :: v_dual_add_f32 v57, v19, v41
	v_mul_f32_e32 v62, 0xbf2c7751, v51
	v_dual_mul_f32 v78, 0xbf2c7751, v46 :: v_dual_sub_f32 v125, v42, v16
	s_delay_alu instid0(VALU_DEP_4) | instskip(SKIP_3) | instid1(VALU_DEP_3)
	v_fma_f32 v1, 0x3f6eb680, v55, -v61
	v_fmamk_f32 v0, v54, 0x3f6eb680, v60
	v_dual_mul_f32 v65, 0xbf2c7751, v52 :: v_dual_sub_f32 v124, v43, v17
	v_add_f32_e32 v59, v17, v43
	v_dual_add_f32 v1, v1, v13 :: v_dual_add_f32 v0, v0, v12
	v_mul_f32_e32 v81, 0xbf2c7751, v47
	s_delay_alu instid0(VALU_DEP_4) | instskip(SKIP_3) | instid1(VALU_DEP_4)
	v_fma_f32 v3, 0x3f3d2fb0, v57, -v65
	v_fmamk_f32 v2, v56, 0x3f3d2fb0, v62
	v_dual_add_f32 v58, v16, v42 :: v_dual_mul_f32 v73, 0xbf65296c, v125
	v_sub_f32_e32 v140, v38, v20
	v_dual_sub_f32 v130, v36, v22 :: v_dual_add_f32 v1, v3, v1
	v_dual_add_f32 v64, v23, v37 :: v_dual_sub_f32 v147, v32, v26
	s_delay_alu instid0(VALU_DEP_4) | instskip(SKIP_4) | instid1(VALU_DEP_4)
	v_fma_f32 v3, 0x3ee437d1, v59, -v73
	v_mul_f32_e32 v66, 0xbf65296c, v124
	v_mul_f32_e32 v83, 0xbf763a35, v140
	v_dual_add_f32 v0, v2, v0 :: v_dual_mul_f32 v77, 0xbf7ee86f, v130
	v_dual_sub_f32 v128, v37, v23 :: v_dual_add_f32 v63, v22, v36
	v_dual_add_f32 v1, v3, v1 :: v_dual_fmamk_f32 v2, v58, 0x3ee437d1, v66
	v_add_f32_e32 v75, v21, v39
	s_delay_alu instid0(VALU_DEP_4) | instskip(NEXT) | instid1(VALU_DEP_4)
	v_fma_f32 v3, 0x3dbcf732, v64, -v77
	v_mul_f32_e32 v76, 0xbf7ee86f, v128
	v_dual_sub_f32 v138, v39, v21 :: v_dual_add_f32 v79, v26, v32
	v_dual_add_f32 v0, v2, v0 :: v_dual_mul_f32 v87, 0xbf4c4adb, v147
	s_delay_alu instid0(VALU_DEP_4)
	v_add_f32_e32 v1, v3, v1
	v_fma_f32 v3, 0xbe8c1d8e, v75, -v83
	v_dual_add_f32 v80, v27, v33 :: v_dual_mul_f32 v103, 0xbf7ee86f, v52
	v_dual_fmamk_f32 v2, v63, 0x3dbcf732, v76 :: v_dual_sub_f32 v151, v34, v24
	v_dual_add_f32 v74, v20, v38 :: v_dual_add_f32 v85, v25, v35
	v_dual_sub_f32 v146, v33, v27 :: v_dual_sub_f32 v157, v28, v30
	v_add_f32_e32 v1, v3, v1
	v_fma_f32 v3, 0xbf1a4643, v80, -v87
	v_mul_f32_e32 v82, 0xbf763a35, v138
	v_dual_add_f32 v0, v2, v0 :: v_dual_mul_f32 v91, 0xbf06c442, v151
	v_dual_mul_f32 v86, 0xbf4c4adb, v146 :: v_dual_add_f32 v89, v31, v29
	v_sub_f32_e32 v150, v35, v25
	s_delay_alu instid0(VALU_DEP_4)
	v_dual_add_f32 v1, v3, v1 :: v_dual_fmamk_f32 v2, v74, 0xbe8c1d8e, v82
	v_sub_f32_e32 v155, v29, v31
	v_mul_f32_e32 v108, 0xbf4c4adb, v51
	v_mul_f32_e32 v152, 0xbf65296c, v128
	;; [unrolled: 1-line block ×3, first 2 shown]
	v_dual_add_f32 v0, v2, v0 :: v_dual_mul_f32 v93, 0xbe3c28d5, v157
	v_fma_f32 v3, 0xbf59a7d5, v85, -v91
	v_dual_add_f32 v84, v24, v34 :: v_dual_mul_f32 v195, 0x3f65296c, v51
	v_fmamk_f32 v10, v63, 0x3ee437d1, v152
	v_fmamk_f32 v6, v56, 0xbf1a4643, v108
	;; [unrolled: 1-line block ×3, first 2 shown]
	v_dual_add_f32 v88, v30, v28 :: v_dual_mul_f32 v105, 0x3f763a35, v147
	v_dual_mul_f32 v92, 0xbe3c28d5, v155 :: v_dual_mul_f32 v97, 0xbe3c28d5, v128
	s_delay_alu instid0(VALU_DEP_3)
	v_dual_add_f32 v0, v2, v0 :: v_dual_mul_f32 v99, 0x3f763a35, v146
	v_dual_add_f32 v1, v3, v1 :: v_dual_fmamk_f32 v2, v84, 0xbf59a7d5, v90
	v_fma_f32 v3, 0xbf7ba420, v89, -v93
	v_fma_f32 v5, 0x3f3d2fb0, v55, -v81
	v_mul_f32_e32 v109, 0x3e3c28d5, v124
	v_mul_f32_e32 v100, 0xbf4c4adb, v125
	v_add_f32_e32 v0, v2, v0
	v_fmamk_f32 v2, v88, 0xbf7ba420, v92
	v_add_f32_e32 v50, v3, v1
	v_mul_f32_e32 v102, 0xbe3c28d5, v130
	v_mul_f32_e32 v95, 0x3eb8f4ab, v155
	;; [unrolled: 1-line block ×3, first 2 shown]
	v_dual_add_f32 v49, v2, v0 :: v_dual_add_f32 v2, v5, v13
	v_fma_f32 v5, 0x3dbcf732, v57, -v103
	s_delay_alu instid0(VALU_DEP_4)
	v_fmamk_f32 v3, v88, 0x3f6eb680, v95
	v_mul_f32_e32 v117, 0x3e3c28d5, v125
	v_mul_f32_e32 v111, 0x3f2c7751, v138
	;; [unrolled: 1-line block ×3, first 2 shown]
	v_add_f32_e32 v2, v5, v2
	v_fma_f32 v5, 0xbf1a4643, v59, -v100
	v_mul_f32_e32 v119, 0x3f2c7751, v140
	v_mul_f32_e32 v115, 0xbf65296c, v46
	;; [unrolled: 1-line block ×4, first 2 shown]
	v_add_f32_e32 v2, v5, v2
	v_fma_f32 v5, 0xbf7ba420, v64, -v102
	v_mul_f32_e32 v107, 0x3eb8f4ab, v157
	v_mul_f32_e32 v123, 0xbf65296c, v47
	v_dual_mul_f32 v110, 0x3f763a35, v128 :: v_dual_mul_f32 v143, 0x3f763a35, v125
	s_delay_alu instid0(VALU_DEP_4) | instskip(SKIP_3) | instid1(VALU_DEP_3)
	v_add_f32_e32 v2, v5, v2
	v_fma_f32 v5, 0xbf59a7d5, v75, -v104
	v_dual_mul_f32 v120, 0xbeb8f4ab, v147 :: v_dual_mul_f32 v149, 0xbeb8f4ab, v150
	v_dual_mul_f32 v114, 0xbf06c442, v155 :: v_dual_mul_f32 v131, 0xbf06c442, v146
	v_add_f32_e32 v2, v5, v2
	v_fma_f32 v5, 0xbe8c1d8e, v80, -v105
	v_fmamk_f32 v4, v54, 0x3f3d2fb0, v78
	v_mul_f32_e32 v101, 0x3f65296c, v150
	v_dual_mul_f32 v126, 0x3f763a35, v124 :: v_dual_mul_f32 v183, 0x3f763a35, v51
	s_delay_alu instid0(VALU_DEP_3) | instskip(SKIP_4) | instid1(VALU_DEP_4)
	v_dual_add_f32 v1, v5, v2 :: v_dual_add_f32 v4, v4, v12
	v_fma_f32 v2, 0x3ee437d1, v85, -v106
	v_fmamk_f32 v11, v84, 0x3f6eb680, v149
	v_mul_f32_e32 v112, 0xbeb8f4ab, v146
	v_mul_f32_e32 v113, 0xbf7ee86f, v150
	v_dual_mul_f32 v122, 0xbf4c4adb, v52 :: v_dual_add_f32 v1, v2, v1
	v_fmamk_f32 v2, v54, 0x3ee437d1, v115
	v_mul_f32_e32 v94, 0xbf7ee86f, v51
	v_mul_f32_e32 v121, 0xbf7ee86f, v151
	v_dual_mul_f32 v156, 0x3f2c7751, v124 :: v_dual_mul_f32 v139, 0x3f2c7751, v157
	s_delay_alu instid0(VALU_DEP_3) | instskip(SKIP_1) | instid1(VALU_DEP_3)
	v_dual_add_f32 v5, v2, v12 :: v_dual_fmamk_f32 v0, v56, 0x3dbcf732, v94
	v_dual_mul_f32 v133, 0xbf7ee86f, v46 :: v_dual_mul_f32 v144, 0xbf7ee86f, v47
	v_fma_f32 v9, 0x3f3d2fb0, v89, -v139
	v_mul_f32_e32 v118, 0x3f763a35, v130
	s_delay_alu instid0(VALU_DEP_4)
	v_add_f32_e32 v0, v0, v4
	v_fmamk_f32 v4, v58, 0xbf1a4643, v96
	v_fmamk_f32 v7, v88, 0xbf59a7d5, v114
	v_mul_f32_e32 v202, 0xbf763a35, v157
	v_mul_f32_e32 v135, 0xbe3c28d5, v51
	;; [unrolled: 1-line block ×3, first 2 shown]
	v_add_f32_e32 v0, v4, v0
	v_fmamk_f32 v4, v63, 0xbf7ba420, v97
	v_mul_f32_e32 v142, 0x3eb8f4ab, v130
	v_fma_f32 v165, 0xbe8c1d8e, v89, -v202
	v_mul_f32_e32 v172, 0xbeb8f4ab, v151
	v_mul_f32_e32 v136, 0xbf06c442, v147
	v_add_f32_e32 v0, v4, v0
	v_fmamk_f32 v4, v74, 0xbf59a7d5, v98
	v_mul_f32_e32 v145, 0xbe3c28d5, v52
	v_fma_f32 v72, 0x3f6eb680, v85, -v172
	v_mul_f32_e32 v132, 0x3f4c4adb, v150
	v_mul_f32_e32 v158, 0xbf763a35, v46
	v_add_f32_e32 v0, v4, v0
	v_fmamk_f32 v4, v79, 0xbe8c1d8e, v99
	v_mul_f32_e32 v127, 0x3eb8f4ab, v128
	v_fma_f32 v8, 0xbf7ba420, v57, -v145
	v_mul_f32_e32 v134, 0x3f2c7751, v155
	v_dual_mul_f32 v154, 0xbe3c28d5, v138 :: v_dual_mul_f32 v187, 0xbe3c28d5, v151
	v_add_f32_e32 v0, v4, v0
	v_fmamk_f32 v4, v84, 0x3ee437d1, v101
	v_mul_f32_e32 v141, 0xbf65296c, v140
	v_mul_f32_e32 v174, 0x3f06c442, v52
	;; [unrolled: 1-line block ×3, first 2 shown]
	s_delay_alu instid0(VALU_DEP_4) | instskip(SKIP_3) | instid1(VALU_DEP_4)
	v_dual_mul_f32 v137, 0x3f4c4adb, v151 :: v_dual_add_f32 v0, v4, v0
	v_fma_f32 v4, 0x3f6eb680, v89, -v107
	v_mul_f32_e32 v192, 0x3f65296c, v157
	v_mul_f32_e32 v159, 0x3f06c442, v51
	v_dual_mul_f32 v193, 0xbe3c28d5, v146 :: v_dual_add_f32 v2, v3, v0
	v_fma_f32 v0, 0x3ee437d1, v55, -v123
	v_add_f32_e32 v3, v6, v5
	v_fmamk_f32 v5, v58, 0xbf7ba420, v109
	v_fma_f32 v6, 0xbf1a4643, v57, -v122
	s_delay_alu instid0(VALU_DEP_4) | instskip(SKIP_1) | instid1(VALU_DEP_4)
	v_dual_mul_f32 v173, 0xbf763a35, v47 :: v_dual_add_f32 v0, v0, v13
	v_fma_f32 v163, 0x3ee437d1, v89, -v192
	v_add_f32_e32 v3, v5, v3
	v_fmamk_f32 v5, v63, 0xbe8c1d8e, v110
	v_mul_f32_e32 v180, 0xbf4c4adb, v46
	v_add_f32_e32 v0, v6, v0
	v_fma_f32 v6, 0xbf7ba420, v59, -v117
	v_mul_f32_e32 v153, 0x3f7ee86f, v146
	v_add_f32_e32 v3, v5, v3
	v_fmamk_f32 v5, v74, 0x3f3d2fb0, v111
	v_mul_f32_e32 v170, 0xbf65296c, v130
	v_add_f32_e32 v0, v6, v0
	v_fma_f32 v6, 0xbe8c1d8e, v64, -v118
	v_mul_f32_e32 v171, 0x3f2c7751, v125
	v_add_f32_e32 v3, v5, v3
	v_fmamk_f32 v5, v79, 0x3f6eb680, v112
	v_mul_f32_e32 v200, 0xbf7ee86f, v124
	v_add_f32_e32 v0, v6, v0
	v_fma_f32 v6, 0x3f3d2fb0, v75, -v119
	v_mul_f32_e32 v169, 0xbe3c28d5, v140
	v_add_f32_e32 v3, v5, v3
	v_fmamk_f32 v5, v84, 0x3dbcf732, v113
	v_dual_mul_f32 v148, 0xbf4c4adb, v155 :: v_dual_mul_f32 v167, 0xbf4c4adb, v157
	v_add_f32_e32 v0, v6, v0
	v_fma_f32 v6, 0x3f6eb680, v80, -v120
	s_delay_alu instid0(VALU_DEP_4)
	v_add_f32_e32 v5, v5, v3
	v_add_f32_e32 v3, v4, v1
	v_fma_f32 v4, 0x3dbcf732, v85, -v121
	v_dual_mul_f32 v168, 0x3f7ee86f, v147 :: v_dual_mul_f32 v185, 0x3f7ee86f, v140
	v_add_f32_e32 v1, v6, v0
	v_fma_f32 v6, 0x3dbcf732, v55, -v144
	v_dual_add_f32 v0, v7, v5 :: v_dual_fmamk_f32 v7, v56, 0xbf7ba420, v135
	v_fma_f32 v5, 0xbf59a7d5, v89, -v116
	s_delay_alu instid0(VALU_DEP_4) | instskip(NEXT) | instid1(VALU_DEP_4)
	v_dual_add_f32 v1, v4, v1 :: v_dual_fmamk_f32 v4, v54, 0x3dbcf732, v133
	v_dual_add_f32 v6, v6, v13 :: v_dual_mul_f32 v177, 0xbf2c7751, v146
	v_mul_f32_e32 v189, 0xbf4c4adb, v47
	s_delay_alu instid0(VALU_DEP_3) | instskip(NEXT) | instid1(VALU_DEP_3)
	v_dual_add_f32 v1, v5, v1 :: v_dual_add_f32 v4, v4, v12
	v_add_f32_e32 v6, v8, v6
	v_fma_f32 v8, 0xbe8c1d8e, v59, -v143
	v_fmamk_f32 v5, v79, 0xbf59a7d5, v131
	v_mul_f32_e32 v191, 0x3f763a35, v52
	v_dual_add_f32 v4, v7, v4 :: v_dual_fmamk_f32 v7, v58, 0xbe8c1d8e, v126
	s_delay_alu instid0(VALU_DEP_4) | instskip(SKIP_4) | instid1(VALU_DEP_4)
	v_add_f32_e32 v6, v8, v6
	v_fma_f32 v8, 0x3f6eb680, v64, -v142
	v_mul_f32_e32 v199, 0x3f4c4adb, v128
	v_mul_f32_e32 v181, 0xbeb8f4ab, v124
	v_add_f32_e32 v4, v7, v4
	v_dual_fmamk_f32 v7, v63, 0x3f6eb680, v127 :: v_dual_add_f32 v6, v8, v6
	v_fma_f32 v8, 0x3ee437d1, v75, -v141
	v_mul_f32_e32 v190, 0xbeb8f4ab, v125
	v_mul_f32_e32 v182, 0xbf06c442, v128
	s_delay_alu instid0(VALU_DEP_4) | instskip(NEXT) | instid1(VALU_DEP_4)
	v_dual_add_f32 v4, v7, v4 :: v_dual_fmamk_f32 v7, v74, 0x3ee437d1, v129
	v_add_f32_e32 v6, v8, v6
	v_fmamk_f32 v8, v54, 0xbe8c1d8e, v158
	v_dual_mul_f32 v188, 0xbf06c442, v130 :: v_dual_mul_f32 v207, 0xbf06c442, v47
	s_delay_alu instid0(VALU_DEP_4) | instskip(SKIP_3) | instid1(VALU_DEP_4)
	v_dual_add_f32 v4, v7, v4 :: v_dual_fmamk_f32 v7, v84, 0xbf1a4643, v132
	v_mul_f32_e32 v198, 0xbeb8f4ab, v138
	v_mul_f32_e32 v205, 0x3f4c4adb, v130
	;; [unrolled: 1-line block ×3, first 2 shown]
	v_add_f32_e32 v4, v5, v4
	v_fma_f32 v5, 0xbf59a7d5, v80, -v136
	v_mul_f32_e32 v186, 0xbf2c7751, v147
	v_dual_mul_f32 v203, 0xbe3c28d5, v147 :: v_dual_mul_f32 v178, 0xbe3c28d5, v150
	s_delay_alu instid0(VALU_DEP_3) | instskip(SKIP_4) | instid1(VALU_DEP_4)
	v_dual_add_f32 v4, v7, v4 :: v_dual_add_f32 v5, v5, v6
	v_fma_f32 v6, 0xbf1a4643, v85, -v137
	v_add_f32_e32 v7, v8, v12
	v_fmamk_f32 v8, v56, 0xbf59a7d5, v159
	v_mul_f32_e32 v194, 0xbf06c442, v46
	v_dual_mul_f32 v196, 0x3f2c7751, v150 :: v_dual_add_f32 v5, v6, v5
	v_mul_f32_e32 v201, 0x3f2c7751, v151
	s_delay_alu instid0(VALU_DEP_4) | instskip(SKIP_4) | instid1(VALU_DEP_4)
	v_dual_add_f32 v6, v8, v7 :: v_dual_fmamk_f32 v7, v58, 0x3f3d2fb0, v156
	v_fmamk_f32 v8, v88, 0x3f3d2fb0, v134
	v_fmamk_f32 v160, v54, 0xbf59a7d5, v194
	v_mul_f32_e32 v208, 0x3f65296c, v52
	v_mul_f32_e32 v197, 0xbf763a35, v155
	v_dual_add_f32 v7, v7, v6 :: v_dual_add_f32 v6, v8, v4
	v_fma_f32 v4, 0xbe8c1d8e, v55, -v173
	v_fmamk_f32 v8, v74, 0xbf7ba420, v154
	v_fma_f32 v161, 0x3ee437d1, v57, -v208
	s_delay_alu instid0(VALU_DEP_4) | instskip(SKIP_3) | instid1(VALU_DEP_4)
	v_add_f32_e32 v7, v10, v7
	v_fma_f32 v10, 0xbf59a7d5, v57, -v174
	v_add_f32_e32 v4, v4, v13
	v_mul_f32_e32 v206, 0xbf7ee86f, v125
	v_dual_mul_f32 v204, 0xbeb8f4ab, v140 :: v_dual_add_f32 v7, v8, v7
	v_fmamk_f32 v8, v79, 0x3dbcf732, v153
	s_delay_alu instid0(VALU_DEP_4) | instskip(SKIP_4) | instid1(VALU_DEP_3)
	v_add_f32_e32 v4, v10, v4
	v_fma_f32 v10, 0x3f3d2fb0, v59, -v171
	s_load_b64 s[0:1], s[0:1], 0x8
	v_mul_f32_e32 v184, 0x3f65296c, v155
	v_dual_add_f32 v8, v8, v7 :: v_dual_add_f32 v7, v9, v5
	v_add_f32_e32 v4, v10, v4
	v_fma_f32 v10, 0x3ee437d1, v64, -v170
	s_delay_alu instid0(VALU_DEP_3) | instskip(SKIP_2) | instid1(VALU_DEP_4)
	v_dual_fmamk_f32 v162, v88, 0x3ee437d1, v184 :: v_dual_add_f32 v5, v11, v8
	v_fmamk_f32 v8, v88, 0xbf1a4643, v148
	v_fma_f32 v11, 0xbe8c1d8e, v57, -v191
	v_add_f32_e32 v9, v10, v4
	v_fma_f32 v10, 0xbf7ba420, v75, -v169
	v_fmamk_f32 v164, v88, 0xbe8c1d8e, v197
	v_add_f32_e32 v4, v8, v5
	v_fma_f32 v8, 0x3dbcf732, v80, -v168
	global_wb scope:SCOPE_SE
	v_add_f32_e32 v5, v10, v9
	v_fmamk_f32 v9, v54, 0xbf1a4643, v180
	v_fma_f32 v10, 0xbf1a4643, v55, -v189
	s_wait_kmcnt 0x0
	s_barrier_signal -1
	s_barrier_wait -1
	v_dual_add_f32 v5, v8, v5 :: v_dual_add_f32 v8, v9, v12
	v_dual_fmamk_f32 v9, v56, 0xbe8c1d8e, v183 :: v_dual_add_f32 v10, v10, v13
	global_inv scope:SCOPE_SE
	v_add_f32_e32 v5, v72, v5
	v_fma_f32 v72, 0xbf1a4643, v89, -v167
	v_dual_add_f32 v8, v9, v8 :: v_dual_add_f32 v9, v11, v10
	v_fmamk_f32 v10, v58, 0x3f6eb680, v181
	v_fma_f32 v11, 0x3f6eb680, v59, -v190
	s_delay_alu instid0(VALU_DEP_4) | instskip(SKIP_1) | instid1(VALU_DEP_3)
	v_add_f32_e32 v5, v72, v5
	v_mul_lo_u16 v72, v70, 17
	v_dual_add_f32 v8, v10, v8 :: v_dual_add_f32 v9, v11, v9
	v_fmamk_f32 v10, v63, 0xbf59a7d5, v182
	v_fma_f32 v11, 0xbf59a7d5, v64, -v188
	s_delay_alu instid0(VALU_DEP_1) | instskip(SKIP_2) | instid1(VALU_DEP_2)
	v_dual_add_f32 v8, v10, v8 :: v_dual_add_f32 v9, v11, v9
	v_fmamk_f32 v10, v74, 0x3dbcf732, v176
	v_fma_f32 v11, 0x3dbcf732, v75, -v185
	v_add_f32_e32 v8, v10, v8
	v_fmamk_f32 v10, v79, 0x3f3d2fb0, v177
	s_delay_alu instid0(VALU_DEP_3) | instskip(SKIP_1) | instid1(VALU_DEP_3)
	v_add_f32_e32 v9, v11, v9
	v_fma_f32 v11, 0x3f3d2fb0, v80, -v186
	v_add_f32_e32 v8, v10, v8
	s_delay_alu instid0(VALU_DEP_2) | instskip(SKIP_1) | instid1(VALU_DEP_2)
	v_dual_fmamk_f32 v10, v84, 0xbf7ba420, v178 :: v_dual_add_f32 v9, v11, v9
	v_fma_f32 v11, 0xbf7ba420, v85, -v187
	v_add_f32_e32 v8, v10, v8
	s_delay_alu instid0(VALU_DEP_2) | instskip(SKIP_2) | instid1(VALU_DEP_2)
	v_dual_add_f32 v10, v160, v12 :: v_dual_add_f32 v9, v11, v9
	v_fmamk_f32 v11, v56, 0x3ee437d1, v195
	v_fma_f32 v160, 0xbf59a7d5, v55, -v207
	v_dual_add_f32 v10, v11, v10 :: v_dual_fmamk_f32 v11, v58, 0x3dbcf732, v200
	s_delay_alu instid0(VALU_DEP_2) | instskip(NEXT) | instid1(VALU_DEP_2)
	v_add_f32_e32 v160, v160, v13
	v_add_f32_e32 v10, v11, v10
	s_delay_alu instid0(VALU_DEP_2) | instskip(SKIP_1) | instid1(VALU_DEP_2)
	v_dual_fmamk_f32 v11, v63, 0xbf1a4643, v199 :: v_dual_add_f32 v160, v161, v160
	v_fma_f32 v161, 0x3dbcf732, v59, -v206
	v_dual_add_f32 v10, v11, v10 :: v_dual_fmamk_f32 v11, v74, 0x3f6eb680, v198
	s_delay_alu instid0(VALU_DEP_2) | instskip(SKIP_1) | instid1(VALU_DEP_3)
	v_add_f32_e32 v160, v161, v160
	v_fma_f32 v161, 0xbf1a4643, v64, -v205
	v_add_f32_e32 v10, v11, v10
	s_delay_alu instid0(VALU_DEP_2) | instskip(SKIP_1) | instid1(VALU_DEP_1)
	v_dual_fmamk_f32 v11, v79, 0xbf7ba420, v193 :: v_dual_add_f32 v160, v161, v160
	v_fma_f32 v161, 0x3f6eb680, v75, -v204
	v_dual_add_f32 v10, v11, v10 :: v_dual_add_f32 v11, v161, v160
	v_fma_f32 v160, 0xbf7ba420, v80, -v203
	v_fmamk_f32 v161, v84, 0x3f3d2fb0, v196
	s_delay_alu instid0(VALU_DEP_2) | instskip(SKIP_1) | instid1(VALU_DEP_3)
	v_add_f32_e32 v11, v160, v11
	v_fma_f32 v160, 0x3f3d2fb0, v85, -v201
	v_dual_add_f32 v161, v161, v10 :: v_dual_add_f32 v10, v162, v8
	s_delay_alu instid0(VALU_DEP_2) | instskip(NEXT) | instid1(VALU_DEP_1)
	v_dual_add_f32 v160, v160, v11 :: v_dual_add_f32 v11, v163, v9
	v_dual_add_f32 v8, v164, v161 :: v_dual_add_f32 v9, v165, v160
	s_and_saveexec_b32 s6, vcc_lo
	s_cbranch_execz .LBB0_7
; %bb.6:
	v_dual_mul_f32 v161, 0xbe3c28d5, v47 :: v_dual_mul_f32 v162, 0xbe3c28d5, v46
	v_dual_mul_f32 v164, 0x3eb8f4ab, v52 :: v_dual_mul_f32 v163, 0x3eb8f4ab, v51
	v_dual_mul_f32 v165, 0xbf06c442, v125 :: v_dual_mul_f32 v124, 0xbf06c442, v124
	s_delay_alu instid0(VALU_DEP_3) | instskip(SKIP_1) | instid1(VALU_DEP_4)
	v_fma_f32 v47, 0xbf7ba420, v54, -v162
	v_mul_f32_e32 v210, 0x3ee437d1, v54
	v_fma_f32 v52, 0x3f6eb680, v56, -v163
	v_dual_mul_f32 v166, 0x3f2c7751, v130 :: v_dual_mul_f32 v125, 0x3f2c7751, v128
	s_delay_alu instid0(VALU_DEP_4) | instskip(SKIP_3) | instid1(VALU_DEP_4)
	v_add_f32_e32 v47, v47, v12
	v_fmamk_f32 v46, v55, 0xbf7ba420, v161
	v_mul_f32_e32 v151, 0xbf763a35, v151
	v_dual_mul_f32 v160, 0x3f6eb680, v54 :: v_dual_mul_f32 v175, 0x3f6eb680, v55
	v_add_f32_e32 v47, v52, v47
	v_fma_f32 v52, 0xbf59a7d5, v58, -v124
	v_mul_f32_e32 v140, 0xbf4c4adb, v140
	v_dual_mul_f32 v179, 0x3f3d2fb0, v54 :: v_dual_add_f32 v46, v46, v13
	v_mul_f32_e32 v147, 0x3f65296c, v147
	s_delay_alu instid0(VALU_DEP_4)
	v_add_f32_e32 v47, v52, v47
	v_fma_f32 v52, 0x3f3d2fb0, v63, -v125
	v_mul_f32_e32 v128, 0xbf4c4adb, v138
	v_mul_f32_e32 v138, 0xbf763a35, v150
	v_fmamk_f32 v212, v85, 0xbe8c1d8e, v151
	v_fmamk_f32 v51, v57, 0x3f6eb680, v164
	v_add_f32_e32 v47, v52, v47
	v_fma_f32 v52, 0xbf1a4643, v74, -v128
	v_mul_f32_e32 v130, 0x3f65296c, v146
	s_delay_alu instid0(VALU_DEP_4) | instskip(SKIP_1) | instid1(VALU_DEP_4)
	v_dual_mul_f32 v209, 0x3f3d2fb0, v55 :: v_dual_add_f32 v46, v51, v46
	v_dual_fmamk_f32 v51, v59, 0xbf59a7d5, v165 :: v_dual_mul_f32 v146, 0xbf59a7d5, v55
	v_add_f32_e32 v47, v52, v47
	s_delay_alu instid0(VALU_DEP_4) | instskip(SKIP_1) | instid1(VALU_DEP_4)
	v_fma_f32 v52, 0x3ee437d1, v79, -v130
	v_fmac_f32_e32 v128, 0xbf1a4643, v74
	v_dual_add_f32 v46, v51, v46 :: v_dual_fmamk_f32 v51, v64, 0x3f3d2fb0, v166
	v_add_f32_e32 v207, v207, v146
	s_delay_alu instid0(VALU_DEP_4) | instskip(SKIP_4) | instid1(VALU_DEP_4)
	v_add_f32_e32 v47, v52, v47
	v_mul_f32_e32 v52, 0x3dbcf732, v59
	v_mul_f32_e32 v146, 0x3f7ee86f, v155
	v_add_f32_e32 v46, v51, v46
	v_fmamk_f32 v51, v75, 0xbf1a4643, v140
	v_dual_add_f32 v155, v207, v13 :: v_dual_add_f32 v52, v206, v52
	v_fmac_f32_e32 v130, 0x3ee437d1, v79
	v_mul_f32_e32 v206, 0xbf59a7d5, v54
	s_delay_alu instid0(VALU_DEP_4) | instskip(SKIP_2) | instid1(VALU_DEP_4)
	v_dual_add_f32 v46, v51, v46 :: v_dual_fmamk_f32 v51, v80, 0x3ee437d1, v147
	v_mul_f32_e32 v211, 0x3ee437d1, v55
	v_sub_f32_e32 v115, v210, v115
	v_sub_f32_e32 v194, v206, v194
	v_mul_f32_e32 v206, 0xbe8c1d8e, v54
	v_dual_add_f32 v46, v51, v46 :: v_dual_mul_f32 v51, 0x3ee437d1, v57
	v_mul_f32_e32 v150, 0x3f7ee86f, v157
	v_fma_f32 v157, 0xbe8c1d8e, v84, -v138
	v_add_f32_e32 v194, v194, v12
	s_delay_alu instid0(VALU_DEP_4)
	v_add_f32_e32 v46, v212, v46
	v_add_f32_e32 v51, v208, v51
	v_fma_f32 v208, 0x3dbcf732, v88, -v146
	v_add_f32_e32 v157, v157, v47
	v_fmamk_f32 v207, v89, 0x3dbcf732, v150
	v_add_f32_e32 v123, v123, v211
	v_add_f32_e32 v51, v51, v155
	v_mul_f32_e32 v212, 0xbe8c1d8e, v75
	s_delay_alu instid0(VALU_DEP_4) | instskip(SKIP_1) | instid1(VALU_DEP_4)
	v_dual_fmac_f32 v138, 0xbe8c1d8e, v84 :: v_dual_add_f32 v47, v207, v46
	v_mul_f32_e32 v207, 0xbf1a4643, v64
	v_dual_add_f32 v51, v52, v51 :: v_dual_mul_f32 v52, 0x3ee437d1, v56
	v_dual_mul_f32 v155, 0x3dbcf732, v54 :: v_dual_add_f32 v46, v208, v157
	s_delay_alu instid0(VALU_DEP_3) | instskip(NEXT) | instid1(VALU_DEP_3)
	v_dual_add_f32 v205, v205, v207 :: v_dual_mul_f32 v208, 0x3ee437d1, v58
	v_sub_f32_e32 v52, v52, v195
	v_mul_f32_e32 v157, 0x3dbcf732, v55
	v_fmac_f32_e32 v124, 0xbf59a7d5, v58
	v_dual_fmac_f32 v146, 0x3dbcf732, v88 :: v_dual_sub_f32 v133, v155, v133
	s_delay_alu instid0(VALU_DEP_4) | instskip(SKIP_3) | instid1(VALU_DEP_3)
	v_add_f32_e32 v52, v52, v194
	v_dual_mul_f32 v194, 0xbf7ba420, v80 :: v_dual_add_f32 v51, v205, v51
	v_mul_f32_e32 v205, 0x3dbcf732, v58
	v_mul_f32_e32 v207, 0x3f6eb680, v75
	v_dual_mul_f32 v195, 0xbe8c1d8e, v55 :: v_dual_add_f32 v194, v203, v194
	v_add_f32_e32 v144, v144, v157
	s_delay_alu instid0(VALU_DEP_4) | instskip(NEXT) | instid1(VALU_DEP_4)
	v_sub_f32_e32 v200, v205, v200
	v_add_f32_e32 v204, v204, v207
	s_delay_alu instid0(VALU_DEP_4) | instskip(NEXT) | instid1(VALU_DEP_4)
	v_add_f32_e32 v173, v173, v195
	v_dual_mul_f32 v155, 0x3f6eb680, v84 :: v_dual_add_f32 v144, v144, v13
	s_delay_alu instid0(VALU_DEP_4) | instskip(NEXT) | instid1(VALU_DEP_4)
	v_add_f32_e32 v52, v200, v52
	v_dual_add_f32 v51, v204, v51 :: v_dual_mul_f32 v200, 0x3f3d2fb0, v85
	v_dual_mul_f32 v204, 0xbf1a4643, v63 :: v_dual_mul_f32 v207, 0xbf1a4643, v54
	v_add_f32_e32 v173, v173, v13
	s_delay_alu instid0(VALU_DEP_3) | instskip(NEXT) | instid1(VALU_DEP_3)
	v_dual_add_f32 v51, v194, v51 :: v_dual_mul_f32 v194, 0x3f6eb680, v74
	v_sub_f32_e32 v199, v204, v199
	v_dual_mul_f32 v205, 0xbf1a4643, v55 :: v_dual_add_f32 v200, v201, v200
	s_delay_alu instid0(VALU_DEP_3) | instskip(NEXT) | instid1(VALU_DEP_3)
	v_dual_mul_f32 v201, 0x3dbcf732, v56 :: v_dual_sub_f32 v194, v194, v198
	v_dual_add_f32 v52, v199, v52 :: v_dual_mul_f32 v199, 0xbe8c1d8e, v89
	s_delay_alu instid0(VALU_DEP_3) | instskip(NEXT) | instid1(VALU_DEP_4)
	v_add_f32_e32 v189, v189, v205
	v_dual_mul_f32 v198, 0x3dbcf732, v57 :: v_dual_add_f32 v51, v200, v51
	v_mul_f32_e32 v200, 0xbf1a4643, v56
	s_delay_alu instid0(VALU_DEP_4) | instskip(SKIP_4) | instid1(VALU_DEP_3)
	v_add_f32_e32 v52, v194, v52
	v_dual_add_f32 v199, v202, v199 :: v_dual_mul_f32 v194, 0xbe8c1d8e, v57
	v_mul_f32_e32 v202, 0xbf7ba420, v79
	v_dual_sub_f32 v180, v207, v180 :: v_dual_mul_f32 v207, 0xbe8c1d8e, v74
	v_dual_sub_f32 v108, v200, v108 :: v_dual_add_f32 v103, v103, v198
	v_dual_sub_f32 v193, v202, v193 :: v_dual_mul_f32 v202, 0x3f3d2fb0, v84
	v_mul_f32_e32 v205, 0xbf1a4643, v57
	v_dual_add_f32 v191, v191, v194 :: v_dual_mul_f32 v194, 0xbf7ba420, v56
	s_delay_alu instid0(VALU_DEP_3) | instskip(NEXT) | instid1(VALU_DEP_4)
	v_dual_add_f32 v189, v189, v13 :: v_dual_sub_f32 v196, v202, v196
	v_dual_add_f32 v52, v193, v52 :: v_dual_mul_f32 v193, 0x3f6eb680, v59
	s_delay_alu instid0(VALU_DEP_2) | instskip(SKIP_1) | instid1(VALU_DEP_3)
	v_dual_add_f32 v180, v180, v12 :: v_dual_add_f32 v189, v191, v189
	v_sub_f32_e32 v94, v201, v94
	v_add_f32_e32 v196, v196, v52
	s_delay_alu instid0(VALU_DEP_4) | instskip(SKIP_3) | instid1(VALU_DEP_4)
	v_dual_mul_f32 v191, 0xbe8c1d8e, v88 :: v_dual_add_f32 v190, v190, v193
	v_mul_f32_e32 v52, 0xbf59a7d5, v64
	v_mul_f32_e32 v193, 0xbf59a7d5, v56
	v_dual_mul_f32 v203, 0x3f3d2fb0, v56 :: v_dual_mul_f32 v204, 0x3f3d2fb0, v57
	v_sub_f32_e32 v191, v191, v197
	s_delay_alu instid0(VALU_DEP_4) | instskip(SKIP_4) | instid1(VALU_DEP_4)
	v_dual_mul_f32 v197, 0xbf59a7d5, v57 :: v_dual_add_f32 v188, v188, v52
	v_dual_add_f32 v189, v190, v189 :: v_dual_mul_f32 v190, 0xbe8c1d8e, v56
	v_mul_f32_e32 v202, 0xbf7ba420, v57
	v_add_f32_e32 v52, v199, v51
	v_add_f32_e32 v51, v191, v196
	v_dual_mul_f32 v191, 0x3ee437d1, v59 :: v_dual_add_f32 v188, v188, v189
	v_mul_f32_e32 v196, 0x3dbcf732, v75
	v_mul_f32_e32 v189, 0xbf1a4643, v58
	;; [unrolled: 1-line block ×3, first 2 shown]
	v_dual_sub_f32 v183, v190, v183 :: v_dual_mul_f32 v190, 0xbf7ba420, v58
	s_delay_alu instid0(VALU_DEP_4) | instskip(SKIP_2) | instid1(VALU_DEP_4)
	v_add_f32_e32 v185, v185, v196
	v_mul_f32_e32 v196, 0x3f3d2fb0, v80
	v_add_f32_e32 v174, v174, v197
	v_dual_add_f32 v180, v183, v180 :: v_dual_mul_f32 v183, 0xbf7ba420, v85
	s_delay_alu instid0(VALU_DEP_4) | instskip(NEXT) | instid1(VALU_DEP_4)
	v_add_f32_e32 v185, v185, v188
	v_add_f32_e32 v186, v186, v196
	v_mul_f32_e32 v188, 0x3f6eb680, v58
	v_mul_f32_e32 v197, 0xbf7ba420, v63
	v_add_f32_e32 v183, v187, v183
	v_mul_f32_e32 v187, 0xbe8c1d8e, v59
	v_dual_add_f32 v185, v186, v185 :: v_dual_mul_f32 v196, 0xbf7ba420, v59
	v_dual_sub_f32 v181, v188, v181 :: v_dual_mul_f32 v188, 0xbe8c1d8e, v58
	s_delay_alu instid0(VALU_DEP_2) | instskip(NEXT) | instid1(VALU_DEP_2)
	v_dual_mul_f32 v186, 0xbf59a7d5, v63 :: v_dual_add_f32 v183, v183, v185
	v_dual_mul_f32 v185, 0x3f3d2fb0, v59 :: v_dual_add_f32 v180, v181, v180
	s_delay_alu instid0(VALU_DEP_2) | instskip(NEXT) | instid1(VALU_DEP_2)
	v_dual_mul_f32 v181, 0x3ee437d1, v89 :: v_dual_sub_f32 v182, v186, v182
	v_dual_mul_f32 v186, 0x3f3d2fb0, v58 :: v_dual_add_f32 v171, v171, v185
	v_mul_f32_e32 v185, 0xbe8c1d8e, v64
	s_delay_alu instid0(VALU_DEP_3) | instskip(NEXT) | instid1(VALU_DEP_4)
	v_dual_add_f32 v181, v192, v181 :: v_dual_mul_f32 v192, 0x3dbcf732, v74
	v_add_f32_e32 v180, v182, v180
	v_add_f32_e32 v173, v174, v173
	v_dual_sub_f32 v158, v206, v158 :: v_dual_sub_f32 v159, v193, v159
	s_delay_alu instid0(VALU_DEP_4) | instskip(NEXT) | instid1(VALU_DEP_3)
	v_sub_f32_e32 v176, v192, v176
	v_dual_mul_f32 v192, 0x3f3d2fb0, v79 :: v_dual_add_f32 v171, v171, v173
	s_delay_alu instid0(VALU_DEP_3) | instskip(NEXT) | instid1(VALU_DEP_3)
	v_dual_add_f32 v158, v158, v12 :: v_dual_add_f32 v145, v145, v202
	v_add_f32_e32 v176, v176, v180
	s_delay_alu instid0(VALU_DEP_3) | instskip(SKIP_1) | instid1(VALU_DEP_4)
	v_dual_mul_f32 v180, 0xbf7ba420, v64 :: v_dual_sub_f32 v177, v192, v177
	v_mul_f32_e32 v192, 0xbe8c1d8e, v63
	v_add_f32_e32 v158, v159, v158
	v_dual_sub_f32 v156, v186, v156 :: v_dual_add_f32 v143, v143, v187
	s_delay_alu instid0(VALU_DEP_4) | instskip(SKIP_4) | instid1(VALU_DEP_4)
	v_add_f32_e32 v176, v177, v176
	v_mul_f32_e32 v177, 0x3ee437d1, v64
	v_mul_f32_e32 v173, 0x3ee437d1, v88
	;; [unrolled: 1-line block ×3, first 2 shown]
	v_dual_add_f32 v144, v145, v144 :: v_dual_mul_f32 v145, 0x3dbcf732, v79
	v_add_f32_e32 v170, v170, v177
	v_mul_f32_e32 v174, 0xbf7ba420, v84
	v_sub_f32_e32 v173, v173, v184
	v_mul_f32_e32 v159, 0xbf7ba420, v74
	v_mul_f32_e32 v187, 0xbf59a7d5, v84
	v_add_f32_e32 v171, v170, v171
	v_sub_f32_e32 v174, v174, v178
	v_dual_add_f32 v170, v181, v183 :: v_dual_mul_f32 v181, 0x3f3d2fb0, v74
	v_dual_add_f32 v156, v156, v158 :: v_dual_add_f32 v143, v143, v144
	s_delay_alu instid0(VALU_DEP_3) | instskip(SKIP_3) | instid1(VALU_DEP_3)
	v_add_f32_e32 v174, v174, v176
	v_mul_f32_e32 v176, 0xbf7ba420, v75
	v_dual_mul_f32 v184, 0x3ee437d1, v63 :: v_dual_sub_f32 v145, v145, v153
	v_dual_mul_f32 v178, 0x3f6eb680, v63 :: v_dual_mul_f32 v177, 0x3f6eb680, v64
	v_add_f32_e32 v176, v169, v176
	v_dual_add_f32 v169, v173, v174 :: v_dual_mul_f32 v174, 0x3dbcf732, v80
	v_sub_f32_e32 v154, v159, v154
	s_delay_alu instid0(VALU_DEP_3) | instskip(SKIP_1) | instid1(VALU_DEP_4)
	v_dual_add_f32 v142, v142, v177 :: v_dual_add_f32 v171, v176, v171
	v_mul_f32_e32 v176, 0xbf59a7d5, v75
	v_dual_add_f32 v168, v168, v174 :: v_dual_mul_f32 v183, 0x3f3d2fb0, v75
	v_dual_mul_f32 v174, 0x3f6eb680, v85 :: v_dual_sub_f32 v135, v194, v135
	s_delay_alu instid0(VALU_DEP_2) | instskip(NEXT) | instid1(VALU_DEP_2)
	v_dual_add_f32 v133, v133, v12 :: v_dual_add_f32 v168, v168, v171
	v_dual_mul_f32 v159, 0xbf59a7d5, v80 :: v_dual_add_f32 v172, v172, v174
	v_mul_f32_e32 v174, 0x3ee437d1, v75
	v_sub_f32_e32 v152, v184, v152
	v_dual_mul_f32 v184, 0x3f6eb680, v79 :: v_dual_sub_f32 v149, v155, v149
	v_mul_f32_e32 v155, 0x3f6eb680, v88
	s_delay_alu instid0(VALU_DEP_3) | instskip(SKIP_3) | instid1(VALU_DEP_4)
	v_dual_add_f32 v141, v141, v174 :: v_dual_add_f32 v152, v152, v156
	v_mul_f32_e32 v156, 0xbf59a7d5, v79
	v_dual_add_f32 v142, v142, v143 :: v_dual_add_f32 v133, v135, v133
	v_sub_f32_e32 v126, v188, v126
	v_add_f32_e32 v152, v154, v152
	v_mul_f32_e32 v154, 0xbf59a7d5, v85
	v_mul_f32_e32 v171, 0x3ee437d1, v74
	v_dual_mul_f32 v174, 0xbf1a4643, v85 :: v_dual_add_f32 v117, v117, v196
	v_dual_mul_f32 v202, 0xbf7ba420, v89 :: v_dual_sub_f32 v127, v178, v127
	v_dual_add_f32 v136, v136, v159 :: v_dual_mul_f32 v159, 0x3f3d2fb0, v89
	v_add_f32_e32 v126, v126, v133
	v_dual_mul_f32 v186, 0xbf1a4643, v79 :: v_dual_mul_f32 v153, 0xbf1a4643, v89
	v_mul_f32_e32 v143, 0xbf1a4643, v84
	v_dual_mul_f32 v194, 0xbf7ba420, v88 :: v_dual_add_f32 v123, v123, v13
	v_add_f32_e32 v122, v122, v205
	v_mul_f32_e32 v206, 0xbf1a4643, v88
	v_add_f32_e32 v118, v118, v185
	v_add_f32_e32 v126, v127, v126
	v_dual_sub_f32 v127, v171, v129 :: v_dual_add_f32 v168, v172, v168
	v_mul_f32_e32 v177, 0x3ee437d1, v85
	v_dual_mul_f32 v172, 0xbf1a4643, v80 :: v_dual_add_f32 v153, v167, v153
	v_dual_mul_f32 v144, 0x3ee437d1, v84 :: v_dual_add_f32 v141, v141, v142
	v_mul_f32_e32 v205, 0x3f6eb680, v89
	v_dual_mul_f32 v158, 0xbe8c1d8e, v79 :: v_dual_add_f32 v145, v145, v152
	v_mul_f32_e32 v152, 0x3dbcf732, v85
	v_dual_add_f32 v126, v127, v126 :: v_dual_sub_f32 v127, v156, v131
	v_add_f32_e32 v122, v122, v123
	v_sub_f32_e32 v129, v206, v148
	v_dual_add_f32 v131, v139, v159 :: v_dual_add_f32 v120, v120, v193
	s_delay_alu instid0(VALU_DEP_4) | instskip(NEXT) | instid1(VALU_DEP_4)
	v_dual_add_f32 v126, v127, v126 :: v_dual_add_f32 v81, v81, v209
	v_add_f32_e32 v117, v117, v122
	v_dual_add_f32 v133, v136, v141 :: v_dual_add_f32 v122, v137, v174
	v_sub_f32_e32 v127, v143, v132
	v_add_f32_e32 v123, v153, v168
	s_delay_alu instid0(VALU_DEP_4) | instskip(NEXT) | instid1(VALU_DEP_4)
	v_dual_add_f32 v117, v118, v117 :: v_dual_add_f32 v118, v119, v183
	v_add_f32_e32 v119, v122, v133
	v_add_f32_e32 v115, v115, v12
	v_mul_f32_e32 v167, 0x3dbcf732, v84
	v_dual_mul_f32 v142, 0xbf59a7d5, v88 :: v_dual_mul_f32 v135, 0xbf59a7d5, v89
	s_delay_alu instid0(VALU_DEP_4) | instskip(SKIP_2) | instid1(VALU_DEP_3)
	v_dual_add_f32 v118, v118, v117 :: v_dual_add_f32 v117, v131, v119
	v_add_f32_e32 v119, v121, v152
	v_dual_add_f32 v81, v81, v13 :: v_dual_add_f32 v108, v108, v115
	v_add_f32_e32 v118, v120, v118
	v_dual_add_f32 v120, v127, v126 :: v_dual_sub_f32 v109, v190, v109
	v_sub_f32_e32 v78, v179, v78
	s_delay_alu instid0(VALU_DEP_4) | instskip(NEXT) | instid1(VALU_DEP_4)
	v_dual_add_f32 v116, v116, v135 :: v_dual_add_f32 v81, v103, v81
	v_add_f32_e32 v118, v119, v118
	s_delay_alu instid0(VALU_DEP_4) | instskip(NEXT) | instid1(VALU_DEP_4)
	v_dual_add_f32 v100, v100, v199 :: v_dual_add_f32 v103, v109, v108
	v_dual_add_f32 v78, v78, v12 :: v_dual_mul_f32 v173, 0xbf59a7d5, v74
	v_dual_mul_f32 v182, 0x3dbcf732, v63 :: v_dual_mul_f32 v195, 0x3dbcf732, v64
	s_delay_alu instid0(VALU_DEP_2)
	v_dual_mul_f32 v157, 0xbe8c1d8e, v80 :: v_dual_add_f32 v78, v94, v78
	v_sub_f32_e32 v94, v189, v96
	v_sub_f32_e32 v60, v160, v60
	v_add_f32_e32 v65, v65, v204
	v_add_f32_e32 v15, v15, v13
	v_sub_f32_e32 v62, v203, v62
	v_add_f32_e32 v78, v94, v78
	v_sub_f32_e32 v94, v197, v97
	s_delay_alu instid0(VALU_DEP_4) | instskip(SKIP_1) | instid1(VALU_DEP_3)
	v_dual_add_f32 v60, v60, v12 :: v_dual_add_f32 v15, v41, v15
	v_dual_add_f32 v14, v14, v12 :: v_dual_add_f32 v41, v73, v191
	v_add_f32_e32 v78, v94, v78
	v_sub_f32_e32 v94, v173, v98
	v_add_f32_e32 v98, v106, v177
	v_add_f32_e32 v60, v62, v60
	v_dual_sub_f32 v62, v208, v66 :: v_dual_add_f32 v15, v43, v15
	s_delay_alu instid0(VALU_DEP_4)
	v_add_f32_e32 v78, v94, v78
	v_sub_f32_e32 v94, v158, v99
	v_sub_f32_e32 v99, v142, v114
	v_dual_add_f32 v81, v100, v81 :: v_dual_add_f32 v100, v102, v180
	v_add_f32_e32 v43, v62, v60
	v_sub_f32_e32 v97, v184, v112
	v_dual_add_f32 v14, v40, v14 :: v_dual_add_f32 v15, v37, v15
	s_delay_alu instid0(VALU_DEP_4) | instskip(SKIP_1) | instid1(VALU_DEP_3)
	v_add_f32_e32 v81, v100, v81
	v_add_f32_e32 v100, v104, v176
	v_dual_fmac_f32 v163, 0x3f6eb680, v56 :: v_dual_add_f32 v14, v42, v14
	v_sub_f32_e32 v37, v182, v76
	v_add_f32_e32 v15, v39, v15
	s_delay_alu instid0(VALU_DEP_4) | instskip(SKIP_4) | instid1(VALU_DEP_4)
	v_add_f32_e32 v81, v100, v81
	v_add_f32_e32 v100, v105, v157
	v_sub_f32_e32 v102, v181, v111
	v_add_f32_e32 v14, v36, v14
	v_dual_add_f32 v36, v37, v43 :: v_dual_sub_f32 v37, v207, v82
	v_add_f32_e32 v81, v100, v81
	v_sub_f32_e32 v108, v192, v110
	v_add_f32_e32 v100, v61, v175
	v_add_f32_e32 v15, v33, v15
	;; [unrolled: 1-line block ×6, first 2 shown]
	v_dual_add_f32 v15, v35, v15 :: v_dual_mul_f32 v188, 0x3f3d2fb0, v88
	v_add_f32_e32 v145, v149, v145
	s_delay_alu instid0(VALU_DEP_4) | instskip(NEXT) | instid1(VALU_DEP_4)
	v_add_f32_e32 v61, v98, v81
	v_dual_add_f32 v81, v100, v13 :: v_dual_add_f32 v96, v102, v96
	s_delay_alu instid0(VALU_DEP_4) | instskip(NEXT) | instid1(VALU_DEP_4)
	v_add_f32_e32 v15, v29, v15
	v_dual_sub_f32 v29, v187, v90 :: v_dual_add_f32 v122, v129, v145
	v_sub_f32_e32 v121, v188, v134
	s_delay_alu instid0(VALU_DEP_4) | instskip(SKIP_2) | instid1(VALU_DEP_3)
	v_add_f32_e32 v65, v65, v81
	v_dual_add_f32 v96, v97, v96 :: v_dual_sub_f32 v97, v167, v113
	v_add_f32_e32 v31, v31, v15
	v_dual_fmac_f32 v125, 0x3f3d2fb0, v63 :: v_dual_add_f32 v40, v41, v65
	v_add_f32_e32 v41, v77, v195
	s_delay_alu instid0(VALU_DEP_4) | instskip(NEXT) | instid1(VALU_DEP_4)
	v_add_f32_e32 v96, v97, v96
	v_add_f32_e32 v25, v25, v31
	v_fma_f32 v31, 0xbf7ba420, v55, -v161
	s_delay_alu instid0(VALU_DEP_4) | instskip(SKIP_1) | instid1(VALU_DEP_4)
	v_dual_add_f32 v97, v116, v118 :: v_dual_add_f32 v40, v41, v40
	v_add_f32_e32 v41, v83, v212
	v_dual_add_f32 v25, v27, v25 :: v_dual_add_f32 v78, v94, v78
	v_sub_f32_e32 v94, v144, v101
	v_add_f32_e32 v96, v99, v96
	s_delay_alu instid0(VALU_DEP_4) | instskip(NEXT) | instid1(VALU_DEP_3)
	v_dual_add_f32 v39, v41, v40 :: v_dual_add_f32 v14, v38, v14
	v_dual_add_f32 v21, v21, v25 :: v_dual_add_f32 v78, v94, v78
	v_add_f32_e32 v13, v31, v13
	v_fma_f32 v27, 0x3f6eb680, v57, -v164
	s_delay_alu instid0(VALU_DEP_3) | instskip(SKIP_1) | instid1(VALU_DEP_3)
	v_dual_add_f32 v14, v32, v14 :: v_dual_add_f32 v21, v23, v21
	v_dual_add_f32 v36, v37, v36 :: v_dual_sub_f32 v37, v186, v86
	v_add_f32_e32 v13, v27, v13
	v_fma_f32 v25, 0xbf59a7d5, v59, -v165
	s_delay_alu instid0(VALU_DEP_4) | instskip(NEXT) | instid1(VALU_DEP_4)
	v_add_f32_e32 v14, v34, v14
	v_dual_sub_f32 v94, v155, v95 :: v_dual_add_f32 v35, v37, v36
	v_fma_f32 v23, 0x3f3d2fb0, v64, -v166
	s_delay_alu instid0(VALU_DEP_3) | instskip(SKIP_2) | instid1(VALU_DEP_3)
	v_dual_add_f32 v13, v25, v13 :: v_dual_add_f32 v14, v28, v14
	v_add_f32_e32 v17, v17, v21
	v_add_f32_e32 v32, v33, v39
	v_dual_add_f32 v28, v29, v35 :: v_dual_add_f32 v13, v23, v13
	v_fma_f32 v21, 0xbf1a4643, v75, -v140
	s_delay_alu instid0(VALU_DEP_4) | instskip(SKIP_2) | instid1(VALU_DEP_4)
	v_dual_add_f32 v17, v19, v17 :: v_dual_fmac_f32 v162, 0xbf7ba420, v54
	v_add_f32_e32 v30, v30, v14
	v_add_f32_e32 v33, v91, v154
	;; [unrolled: 1-line block ×3, first 2 shown]
	s_delay_alu instid0(VALU_DEP_4) | instskip(SKIP_1) | instid1(VALU_DEP_4)
	v_dual_add_f32 v13, v45, v17 :: v_dual_add_f32 v12, v162, v12
	v_sub_f32_e32 v29, v194, v92
	v_add_f32_e32 v32, v33, v32
	v_add_f32_e32 v33, v93, v202
	;; [unrolled: 1-line block ×5, first 2 shown]
	s_delay_alu instid0(VALU_DEP_4) | instskip(NEXT) | instid1(VALU_DEP_3)
	v_add_f32_e32 v15, v33, v32
	v_add_f32_e32 v12, v124, v12
	s_delay_alu instid0(VALU_DEP_1) | instskip(NEXT) | instid1(VALU_DEP_1)
	v_add_f32_e32 v12, v125, v12
	v_add_f32_e32 v12, v128, v12
	;; [unrolled: 1-line block ×3, first 2 shown]
	s_delay_alu instid0(VALU_DEP_1) | instskip(NEXT) | instid1(VALU_DEP_1)
	v_add_f32_e32 v24, v26, v24
	v_add_f32_e32 v20, v20, v24
	s_delay_alu instid0(VALU_DEP_1) | instskip(NEXT) | instid1(VALU_DEP_1)
	v_add_f32_e32 v20, v22, v20
	v_add_f32_e32 v16, v16, v20
	v_fma_f32 v20, 0x3ee437d1, v80, -v147
	v_add_f32_e32 v14, v29, v28
	s_delay_alu instid0(VALU_DEP_2) | instskip(SKIP_2) | instid1(VALU_DEP_3)
	v_dual_add_f32 v16, v18, v16 :: v_dual_add_f32 v17, v20, v19
	v_fma_f32 v18, 0xbe8c1d8e, v85, -v151
	v_add_f32_e32 v19, v130, v12
	v_add_f32_e32 v12, v44, v16
	s_delay_alu instid0(VALU_DEP_3) | instskip(SKIP_1) | instid1(VALU_DEP_4)
	v_dual_add_f32 v17, v18, v17 :: v_dual_and_b32 v16, 0xffff, v72
	v_fma_f32 v18, 0x3dbcf732, v89, -v150
	v_add_f32_e32 v19, v138, v19
	s_delay_alu instid0(VALU_DEP_3) | instskip(NEXT) | instid1(VALU_DEP_3)
	v_add_lshl_u32 v20, v53, v16, 3
	v_add_f32_e32 v17, v18, v17
	s_delay_alu instid0(VALU_DEP_3)
	v_add_f32_e32 v16, v146, v19
	ds_store_2addr_b64 v20, v[12:13], v[14:15] offset1:1
	ds_store_2addr_b64 v20, v[60:61], v[96:97] offset0:2 offset1:3
	ds_store_2addr_b64 v20, v[116:117], v[122:123] offset0:4 offset1:5
	;; [unrolled: 1-line block ×7, first 2 shown]
	ds_store_b64 v20, v[49:50] offset:128
.LBB0_7:
	s_wait_alu 0xfffe
	s_or_b32 exec_lo, exec_lo, s6
	v_mad_co_u64_u32 v[28:29], null, 0x48, v70, s[0:1]
	s_load_b128 s[0:3], s[2:3], 0x0
	global_wb scope:SCOPE_SE
	s_wait_dscnt 0x0
	s_wait_kmcnt 0x0
	s_barrier_signal -1
	s_barrier_wait -1
	global_inv scope:SCOPE_SE
	v_add_lshl_u32 v74, v53, v70, 3
	s_clause 0x4
	global_load_b128 v[24:27], v[28:29], off
	global_load_b128 v[20:23], v[28:29], off offset:16
	global_load_b128 v[16:19], v[28:29], off offset:32
	global_load_b128 v[12:15], v[28:29], off offset:48
	global_load_b64 v[51:52], v[28:29], off offset:64
	ds_load_2addr_b64 v[28:31], v74 offset1:17
	ds_load_2addr_b64 v[32:35], v74 offset0:34 offset1:51
	ds_load_2addr_b64 v[36:39], v74 offset0:68 offset1:85
	;; [unrolled: 1-line block ×4, first 2 shown]
	v_lshl_add_u32 v73, v70, 3, v71
	s_wait_loadcnt_dscnt 0x403
	v_dual_mul_f32 v53, v31, v25 :: v_dual_mul_f32 v56, v32, v27
	v_dual_mul_f32 v54, v30, v25 :: v_dual_mul_f32 v55, v33, v27
	s_wait_loadcnt_dscnt 0x302
	v_dual_mul_f32 v57, v35, v21 :: v_dual_mul_f32 v60, v36, v23
	v_dual_mul_f32 v58, v34, v21 :: v_dual_mul_f32 v59, v37, v23
	;; [unrolled: 3-line block ×4, first 2 shown]
	s_wait_loadcnt 0x0
	v_dual_mul_f32 v77, v47, v52 :: v_dual_fmac_f32 v56, v33, v26
	v_fmac_f32_e32 v58, v35, v20
	v_fma_f32 v33, v36, v22, -v59
	v_fma_f32 v35, v40, v18, -v63
	v_fmac_f32_e32 v54, v31, v24
	v_fma_f32 v31, v32, v26, -v55
	v_mul_f32_e32 v78, v46, v52
	v_fma_f32 v32, v34, v20, -v57
	v_fma_f32 v34, v38, v16, -v61
	;; [unrolled: 1-line block ×3, first 2 shown]
	v_fmac_f32_e32 v64, v41, v18
	v_fma_f32 v36, v42, v12, -v65
	v_fmac_f32_e32 v76, v45, v14
	v_fmac_f32_e32 v60, v37, v22
	v_fma_f32 v37, v44, v14, -v75
	v_fma_f32 v38, v46, v51, -v77
	v_dual_fmac_f32 v66, v43, v12 :: v_dual_sub_f32 v81, v32, v34
	v_dual_fmac_f32 v62, v39, v16 :: v_dual_add_f32 v39, v28, v31
	v_dual_fmac_f32 v78, v47, v51 :: v_dual_add_f32 v53, v29, v56
	v_dual_add_f32 v40, v33, v35 :: v_dual_sub_f32 v47, v35, v37
	v_sub_f32_e32 v43, v31, v33
	v_add_f32_e32 v45, v31, v37
	v_dual_sub_f32 v41, v56, v76 :: v_dual_sub_f32 v44, v37, v35
	v_dual_add_f32 v55, v60, v64 :: v_dual_sub_f32 v46, v33, v31
	v_sub_f32_e32 v59, v56, v60
	v_add_f32_e32 v75, v30, v32
	v_sub_f32_e32 v79, v58, v78
	v_add_f32_e32 v83, v32, v38
	v_dual_sub_f32 v61, v76, v64 :: v_dual_sub_f32 v80, v62, v66
	v_add_f32_e32 v77, v34, v36
	v_sub_f32_e32 v57, v33, v35
	v_dual_add_f32 v63, v56, v76 :: v_dual_add_f32 v86, v54, v58
	v_dual_sub_f32 v56, v60, v56 :: v_dual_add_f32 v87, v62, v66
	v_dual_sub_f32 v65, v64, v76 :: v_dual_sub_f32 v90, v78, v66
	v_dual_sub_f32 v84, v34, v32 :: v_dual_add_f32 v33, v39, v33
	v_sub_f32_e32 v32, v32, v38
	v_sub_f32_e32 v88, v34, v36
	v_dual_sub_f32 v92, v66, v78 :: v_dual_add_f32 v39, v43, v44
	v_fma_f32 v93, -0.5, v40, v28
	v_fma_f32 v40, -0.5, v45, v28
	v_add_f32_e32 v44, v59, v61
	v_dual_add_f32 v34, v75, v34 :: v_dual_add_f32 v33, v33, v35
	v_fma_f32 v45, -0.5, v77, v30
	v_dual_add_f32 v91, v58, v78 :: v_dual_sub_f32 v42, v60, v64
	v_dual_sub_f32 v31, v31, v37 :: v_dual_sub_f32 v82, v38, v36
	v_sub_f32_e32 v85, v36, v38
	v_dual_sub_f32 v89, v58, v62 :: v_dual_fmac_f32 v30, -0.5, v83
	v_dual_sub_f32 v58, v62, v58 :: v_dual_add_f32 v43, v53, v60
	v_fma_f32 v53, -0.5, v55, v29
	v_fma_f32 v55, -0.5, v63, v29
	v_dual_add_f32 v29, v56, v65 :: v_dual_add_f32 v56, v86, v62
	v_fmamk_f32 v61, v41, 0x3f737871, v93
	v_fma_f32 v59, -0.5, v87, v54
	v_add_f32_e32 v34, v34, v36
	v_fmamk_f32 v36, v79, 0x3f737871, v45
	v_fmac_f32_e32 v45, 0xbf737871, v79
	v_fmac_f32_e32 v54, -0.5, v91
	v_dual_add_f32 v60, v89, v90 :: v_dual_add_f32 v35, v43, v64
	v_fmamk_f32 v62, v42, 0xbf737871, v40
	v_dual_fmac_f32 v40, 0x3f737871, v42 :: v_dual_fmamk_f32 v63, v57, 0x3f737871, v55
	v_fmamk_f32 v43, v31, 0xbf737871, v53
	v_dual_fmac_f32 v55, 0xbf737871, v57 :: v_dual_add_f32 v56, v56, v66
	v_dual_fmamk_f32 v66, v88, 0x3f737871, v54 :: v_dual_add_f32 v35, v35, v76
	v_dual_add_f32 v58, v58, v92 :: v_dual_fmac_f32 v53, 0x3f737871, v31
	v_dual_fmamk_f32 v64, v80, 0xbf737871, v30 :: v_dual_add_f32 v33, v33, v37
	v_dual_fmamk_f32 v65, v32, 0xbf737871, v59 :: v_dual_fmac_f32 v54, 0xbf737871, v88
	s_delay_alu instid0(VALU_DEP_4)
	v_dual_fmac_f32 v63, 0xbf167918, v31 :: v_dual_fmac_f32 v66, 0xbf167918, v32
	v_fmac_f32_e32 v55, 0x3f167918, v31
	v_dual_add_f32 v28, v46, v47 :: v_dual_add_f32 v47, v84, v85
	v_dual_add_f32 v46, v81, v82 :: v_dual_fmac_f32 v93, 0xbf737871, v41
	v_dual_fmac_f32 v30, 0x3f737871, v80 :: v_dual_add_f32 v31, v34, v38
	v_fmac_f32_e32 v59, 0x3f737871, v32
	v_dual_fmac_f32 v53, 0x3f167918, v57 :: v_dual_fmac_f32 v36, 0x3f167918, v80
	v_dual_fmac_f32 v64, 0x3f167918, v79 :: v_dual_add_f32 v37, v56, v78
	s_delay_alu instid0(VALU_DEP_4)
	v_dual_fmac_f32 v65, 0xbf167918, v88 :: v_dual_sub_f32 v34, v33, v31
	v_fmac_f32_e32 v54, 0x3f167918, v32
	v_dual_fmac_f32 v55, 0x3e9e377a, v29 :: v_dual_fmac_f32 v66, 0x3e9e377a, v58
	v_dual_fmac_f32 v61, 0x3f167918, v42 :: v_dual_fmac_f32 v62, 0x3f167918, v41
	;; [unrolled: 1-line block ×4, first 2 shown]
	v_fmac_f32_e32 v45, 0xbf167918, v80
	v_dual_fmac_f32 v53, 0x3e9e377a, v44 :: v_dual_fmac_f32 v64, 0x3e9e377a, v47
	s_delay_alu instid0(VALU_DEP_3)
	v_dual_fmac_f32 v63, 0x3e9e377a, v29 :: v_dual_fmac_f32 v30, 0x3e9e377a, v47
	v_dual_fmac_f32 v65, 0x3e9e377a, v60 :: v_dual_fmac_f32 v54, 0x3e9e377a, v58
	v_dual_add_f32 v29, v35, v37 :: v_dual_mul_f32 v42, 0x3f737871, v66
	v_dual_fmac_f32 v61, 0x3e9e377a, v39 :: v_dual_fmac_f32 v62, 0x3e9e377a, v28
	v_dual_fmac_f32 v93, 0x3e9e377a, v39 :: v_dual_fmac_f32 v40, 0x3e9e377a, v28
	;; [unrolled: 1-line block ×3, first 2 shown]
	v_dual_add_f32 v28, v33, v31 :: v_dual_fmac_f32 v45, 0x3e9e377a, v46
	v_fmac_f32_e32 v42, 0x3e9e377a, v64
	v_mul_f32_e32 v41, 0x3f167918, v65
	v_dual_sub_f32 v35, v35, v37 :: v_dual_mul_f32 v56, 0xbf737871, v64
	v_mul_f32_e32 v31, 0x3e9e377a, v30
	s_delay_alu instid0(VALU_DEP_3) | instskip(SKIP_3) | instid1(VALU_DEP_4)
	v_dual_sub_f32 v46, v62, v42 :: v_dual_fmac_f32 v41, 0x3f4f1bbd, v36
	v_fmac_f32_e32 v59, 0x3f167918, v88
	v_mul_f32_e32 v33, 0x3e9e377a, v54
	v_fmac_f32_e32 v56, 0x3e9e377a, v66
	v_sub_f32_e32 v44, v61, v41
	s_delay_alu instid0(VALU_DEP_3) | instskip(SKIP_1) | instid1(VALU_DEP_2)
	v_fma_f32 v58, 0xbf737871, v30, -v33
	v_dual_add_f32 v30, v61, v41 :: v_dual_fmac_f32 v59, 0x3e9e377a, v60
	v_dual_mul_f32 v32, 0x3f4f1bbd, v45 :: v_dual_add_f32 v39, v55, v58
	v_sub_f32_e32 v41, v55, v58
	s_delay_alu instid0(VALU_DEP_3) | instskip(NEXT) | instid1(VALU_DEP_3)
	v_mul_f32_e32 v37, 0x3f4f1bbd, v59
	v_fma_f32 v57, 0x3f167918, v59, -v32
	s_delay_alu instid0(VALU_DEP_2) | instskip(NEXT) | instid1(VALU_DEP_2)
	v_fma_f32 v59, 0xbf167918, v45, -v37
	v_add_f32_e32 v32, v93, v57
	v_fma_f32 v54, 0x3f737871, v54, -v31
	v_dual_mul_f32 v47, 0xbf167918, v36 :: v_dual_add_f32 v36, v62, v42
	v_add_f32_e32 v37, v63, v56
	s_delay_alu instid0(VALU_DEP_3) | instskip(NEXT) | instid1(VALU_DEP_3)
	v_dual_add_f32 v33, v53, v59 :: v_dual_add_f32 v38, v40, v54
	v_dual_fmac_f32 v47, 0x3f4f1bbd, v65 :: v_dual_sub_f32 v40, v40, v54
	s_delay_alu instid0(VALU_DEP_1)
	v_dual_sub_f32 v42, v93, v57 :: v_dual_add_f32 v31, v43, v47
	v_sub_f32_e32 v45, v43, v47
	v_sub_f32_e32 v47, v63, v56
	;; [unrolled: 1-line block ×3, first 2 shown]
	ds_store_2addr_b64 v73, v[28:29], v[30:31] offset1:17
	ds_store_2addr_b64 v73, v[36:37], v[38:39] offset0:34 offset1:51
	ds_store_2addr_b64 v73, v[32:33], v[34:35] offset0:68 offset1:85
	;; [unrolled: 1-line block ×4, first 2 shown]
	global_wb scope:SCOPE_SE
	s_wait_dscnt 0x0
	s_barrier_signal -1
	s_barrier_wait -1
	global_inv scope:SCOPE_SE
	s_and_saveexec_b32 s8, vcc_lo
	s_cbranch_execz .LBB0_9
; %bb.8:
	s_add_nc_u64 s[6:7], s[4:5], 0x550
	s_clause 0x10
	global_load_b64 v[65:66], v68, s[4:5] offset:1360
	global_load_b64 v[95:96], v68, s[6:7] offset:80
	;; [unrolled: 1-line block ×17, first 2 shown]
	ds_load_2addr_b64 v[53:56], v73 offset1:10
	ds_load_2addr_b64 v[57:60], v73 offset0:20 offset1:30
	ds_load_2addr_b64 v[61:64], v73 offset0:40 offset1:50
	;; [unrolled: 1-line block ×7, first 2 shown]
	ds_load_b64 v[127:128], v73 offset:1280
	s_wait_loadcnt_dscnt 0x1008
	v_mul_f32_e32 v129, v54, v66
	s_wait_loadcnt 0xf
	v_dual_mul_f32 v130, v53, v66 :: v_dual_mul_f32 v131, v56, v96
	v_mul_f32_e32 v66, v55, v96
	s_wait_loadcnt_dscnt 0xd07
	v_dual_mul_f32 v132, v58, v98 :: v_dual_mul_f32 v133, v60, v100
	s_wait_loadcnt_dscnt 0xb06
	v_dual_mul_f32 v96, v57, v98 :: v_dual_mul_f32 v135, v64, v104
	v_mul_f32_e32 v98, v59, v100
	v_mul_f32_e32 v134, v62, v102
	s_wait_loadcnt_dscnt 0x905
	v_dual_mul_f32 v100, v61, v102 :: v_dual_mul_f32 v137, v78, v108
	v_mul_f32_e32 v102, v63, v104
	s_wait_loadcnt_dscnt 0x704
	v_dual_mul_f32 v136, v76, v106 :: v_dual_mul_f32 v139, v82, v112
	s_wait_loadcnt_dscnt 0x503
	v_dual_mul_f32 v104, v75, v106 :: v_dual_mul_f32 v141, v86, v116
	v_mul_f32_e32 v106, v77, v108
	s_wait_loadcnt_dscnt 0x302
	v_dual_mul_f32 v138, v80, v110 :: v_dual_mul_f32 v143, v90, v120
	s_wait_loadcnt_dscnt 0x101
	v_dual_mul_f32 v108, v79, v110 :: v_dual_mul_f32 v145, v94, v124
	v_mul_f32_e32 v110, v81, v112
	v_mul_f32_e32 v140, v84, v114
	;; [unrolled: 1-line block ×10, first 2 shown]
	s_wait_loadcnt_dscnt 0x0
	v_mul_f32_e32 v146, v128, v126
	v_mul_f32_e32 v124, v127, v126
	v_fma_f32 v129, v53, v65, -v129
	v_fmac_f32_e32 v130, v54, v65
	v_fma_f32 v65, v55, v95, -v131
	v_fmac_f32_e32 v66, v56, v95
	;; [unrolled: 2-line block ×17, first 2 shown]
	ds_store_2addr_b64 v73, v[129:130], v[65:66] offset1:10
	ds_store_2addr_b64 v73, v[95:96], v[97:98] offset0:20 offset1:30
	ds_store_2addr_b64 v73, v[99:100], v[101:102] offset0:40 offset1:50
	;; [unrolled: 1-line block ×7, first 2 shown]
	ds_store_b64 v73, v[123:124] offset:1280
.LBB0_9:
	s_wait_alu 0xfffe
	s_or_b32 exec_lo, exec_lo, s8
	global_wb scope:SCOPE_SE
	s_wait_dscnt 0x0
	s_barrier_signal -1
	s_barrier_wait -1
	global_inv scope:SCOPE_SE
	s_and_saveexec_b32 s6, vcc_lo
	s_cbranch_execz .LBB0_11
; %bb.10:
	ds_load_2addr_b64 v[28:31], v73 offset1:10
	ds_load_2addr_b64 v[36:39], v73 offset0:20 offset1:30
	ds_load_2addr_b64 v[32:35], v73 offset0:40 offset1:50
	;; [unrolled: 1-line block ×7, first 2 shown]
	ds_load_b64 v[49:50], v73 offset:1280
.LBB0_11:
	s_wait_alu 0xfffe
	s_or_b32 exec_lo, exec_lo, s6
	global_wb scope:SCOPE_SE
	s_wait_dscnt 0x0
	s_barrier_signal -1
	s_barrier_wait -1
	global_inv scope:SCOPE_SE
	s_and_saveexec_b32 s6, vcc_lo
	s_cbranch_execz .LBB0_13
; %bb.12:
	v_dual_add_f32 v66, v50, v31 :: v_dual_add_f32 v187, v7, v33
	v_dual_sub_f32 v80, v30, v49 :: v_dual_sub_f32 v75, v32, v6
	v_dual_add_f32 v194, v3, v37 :: v_dual_sub_f32 v77, v38, v0
	s_delay_alu instid0(VALU_DEP_3) | instskip(SKIP_1) | instid1(VALU_DEP_3)
	v_mul_f32_e32 v94, 0xbf7ba420, v66
	v_dual_add_f32 v192, v1, v39 :: v_dual_add_f32 v65, v11, v45
	v_mul_f32_e32 v96, 0x3f6eb680, v194
	v_dual_sub_f32 v154, v31, v50 :: v_dual_sub_f32 v155, v37, v3
	s_delay_alu instid0(VALU_DEP_4) | instskip(NEXT) | instid1(VALU_DEP_4)
	v_fmamk_f32 v53, v80, 0x3e3c28d5, v94
	v_dual_sub_f32 v76, v36, v2 :: v_dual_mul_f32 v97, 0xbf59a7d5, v192
	v_sub_f32_e32 v78, v34, v4
	v_dual_add_f32 v188, v5, v35 :: v_dual_sub_f32 v79, v44, v10
	s_delay_alu instid0(VALU_DEP_4) | instskip(NEXT) | instid1(VALU_DEP_4)
	v_add_f32_e32 v53, v29, v53
	v_fmamk_f32 v55, v77, 0x3f06c442, v97
	v_fmamk_f32 v54, v76, 0xbeb8f4ab, v96
	v_mul_f32_e32 v98, 0x3f3d2fb0, v187
	v_dual_add_f32 v82, v49, v30 :: v_dual_mul_f32 v103, 0xbf1a4643, v188
	v_add_f32_e32 v83, v2, v36
	s_delay_alu instid0(VALU_DEP_3) | instskip(SKIP_2) | instid1(VALU_DEP_3)
	v_dual_add_f32 v53, v54, v53 :: v_dual_fmamk_f32 v54, v75, 0xbf2c7751, v98
	v_dual_mul_f32 v100, 0x3ee437d1, v65 :: v_dual_add_f32 v177, v9, v47
	v_dual_sub_f32 v167, v39, v1 :: v_dual_sub_f32 v174, v33, v7
	v_dual_add_f32 v53, v55, v53 :: v_dual_mul_f32 v102, 0xbe3c28d5, v154
	v_add_f32_e32 v85, v0, v38
	s_delay_alu instid0(VALU_DEP_3) | instskip(NEXT) | instid1(VALU_DEP_3)
	v_dual_mul_f32 v95, 0xbf06c442, v167 :: v_dual_add_f32 v180, v43, v41
	v_add_f32_e32 v53, v54, v53
	s_delay_alu instid0(VALU_DEP_4) | instskip(SKIP_3) | instid1(VALU_DEP_4)
	v_fmamk_f32 v56, v82, 0xbf7ba420, v102
	v_fmamk_f32 v55, v78, 0x3f4c4adb, v103
	;; [unrolled: 1-line block ×3, first 2 shown]
	v_dual_sub_f32 v175, v35, v5 :: v_dual_mul_f32 v106, 0x3dbcf732, v180
	v_dual_add_f32 v56, v28, v56 :: v_dual_mul_f32 v101, 0x3eb8f4ab, v155
	s_delay_alu instid0(VALU_DEP_4) | instskip(SKIP_1) | instid1(VALU_DEP_4)
	v_add_f32_e32 v53, v55, v53
	v_mul_f32_e32 v99, 0xbe8c1d8e, v177
	v_dual_sub_f32 v81, v46, v8 :: v_dual_mul_f32 v92, 0xbf4c4adb, v175
	s_delay_alu instid0(VALU_DEP_4) | instskip(NEXT) | instid1(VALU_DEP_4)
	v_dual_fmamk_f32 v55, v83, 0x3f6eb680, v101 :: v_dual_add_f32 v86, v6, v32
	v_add_f32_e32 v53, v54, v53
	v_dual_mul_f32 v91, 0x3f2c7751, v174 :: v_dual_add_f32 v88, v10, v44
	s_delay_alu instid0(VALU_DEP_3) | instskip(SKIP_3) | instid1(VALU_DEP_4)
	v_dual_add_f32 v54, v55, v56 :: v_dual_fmamk_f32 v55, v85, 0xbf59a7d5, v95
	v_sub_f32_e32 v84, v40, v42
	v_dual_add_f32 v87, v4, v34 :: v_dual_sub_f32 v178, v47, v9
	v_mul_f32_e32 v108, 0x3dbcf732, v192
	v_add_f32_e32 v54, v55, v54
	v_fmamk_f32 v56, v81, 0x3f763a35, v99
	v_mul_f32_e32 v121, 0xbf59a7d5, v66
	v_add_f32_e32 v90, v8, v46
	v_dual_mul_f32 v104, 0xbf763a35, v178 :: v_dual_sub_f32 v179, v41, v43
	s_delay_alu instid0(VALU_DEP_4)
	v_add_f32_e32 v53, v56, v53
	v_fmamk_f32 v56, v84, 0xbf7ee86f, v106
	v_fmamk_f32 v55, v86, 0x3f3d2fb0, v91
	v_sub_f32_e32 v171, v45, v11
	v_mul_f32_e32 v126, 0x3f65296c, v155
	v_dual_mul_f32 v112, 0xbf1a4643, v187 :: v_dual_add_f32 v89, v42, v40
	s_delay_alu instid0(VALU_DEP_4) | instskip(SKIP_4) | instid1(VALU_DEP_4)
	v_add_f32_e32 v54, v55, v54
	v_fmamk_f32 v55, v87, 0xbf1a4643, v92
	v_mul_f32_e32 v93, 0x3f65296c, v171
	v_mul_f32_e32 v105, 0x3f7ee86f, v179
	;; [unrolled: 1-line block ×3, first 2 shown]
	v_dual_mul_f32 v146, 0xbeb8f4ab, v175 :: v_dual_add_f32 v55, v55, v54
	s_delay_alu instid0(VALU_DEP_4) | instskip(SKIP_2) | instid1(VALU_DEP_3)
	v_fmamk_f32 v57, v88, 0x3ee437d1, v93
	v_fmamk_f32 v58, v80, 0x3f06c442, v121
	v_dual_add_f32 v54, v56, v53 :: v_dual_mul_f32 v113, 0x3f6eb680, v188
	v_dual_mul_f32 v120, 0xbe8c1d8e, v194 :: v_dual_add_f32 v53, v57, v55
	v_fmamk_f32 v57, v90, 0xbe8c1d8e, v104
	v_mul_f32_e32 v140, 0x3f7ee86f, v175
	v_mul_f32_e32 v111, 0x3dbcf732, v188
	;; [unrolled: 1-line block ×3, first 2 shown]
	s_delay_alu instid0(VALU_DEP_4) | instskip(SKIP_1) | instid1(VALU_DEP_4)
	v_dual_mul_f32 v110, 0xbf59a7d5, v187 :: v_dual_add_f32 v53, v57, v53
	v_fmamk_f32 v57, v89, 0x3dbcf732, v105
	v_fmamk_f32 v60, v78, 0xbf7ee86f, v111
	v_mul_f32_e32 v107, 0x3ee437d1, v194
	v_add_f32_e32 v55, v29, v58
	s_delay_alu instid0(VALU_DEP_4) | instskip(SKIP_1) | instid1(VALU_DEP_4)
	v_dual_mul_f32 v130, 0x3f4c4adb, v174 :: v_dual_add_f32 v53, v57, v53
	v_fmamk_f32 v57, v82, 0xbf59a7d5, v125
	v_fmamk_f32 v56, v76, 0xbf65296c, v107
	v_mul_f32_e32 v123, 0xbf1a4643, v66
	v_dual_mul_f32 v147, 0xbe3c28d5, v171 :: v_dual_mul_f32 v142, 0xbe3c28d5, v178
	s_delay_alu instid0(VALU_DEP_4) | instskip(NEXT) | instid1(VALU_DEP_4)
	v_dual_add_f32 v57, v28, v57 :: v_dual_fmamk_f32 v58, v83, 0x3ee437d1, v126
	v_dual_add_f32 v55, v56, v55 :: v_dual_fmamk_f32 v56, v77, 0x3f7ee86f, v108
	v_mul_f32_e32 v122, 0xbf763a35, v179
	v_mul_f32_e32 v119, 0xbf7ba420, v65
	s_delay_alu instid0(VALU_DEP_4) | instskip(NEXT) | instid1(VALU_DEP_4)
	v_dual_add_f32 v57, v58, v57 :: v_dual_fmamk_f32 v58, v85, 0x3dbcf732, v127
	v_dual_add_f32 v55, v56, v55 :: v_dual_fmamk_f32 v56, v75, 0xbf4c4adb, v112
	v_mul_f32_e32 v139, 0x3f763a35, v155
	v_mul_f32_e32 v114, 0x3f3d2fb0, v177
	s_delay_alu instid0(VALU_DEP_4) | instskip(SKIP_4) | instid1(VALU_DEP_4)
	v_add_f32_e32 v57, v58, v57
	v_fmamk_f32 v58, v86, 0xbf1a4643, v130
	v_mul_f32_e32 v135, 0x3f2c7751, v178
	v_mul_f32_e32 v115, 0xbe8c1d8e, v180
	;; [unrolled: 1-line block ×3, first 2 shown]
	v_dual_mul_f32 v164, 0x3f06c442, v155 :: v_dual_add_f32 v57, v58, v57
	v_fmamk_f32 v58, v87, 0x3f6eb680, v146
	v_dual_fmamk_f32 v59, v76, 0xbf763a35, v120 :: v_dual_mul_f32 v162, 0xbf763a35, v154
	s_delay_alu instid0(VALU_DEP_3) | instskip(SKIP_1) | instid1(VALU_DEP_4)
	v_fmamk_f32 v62, v83, 0xbf59a7d5, v164
	v_mul_f32_e32 v109, 0x3f6eb680, v192
	v_dual_add_f32 v57, v58, v57 :: v_dual_fmamk_f32 v58, v88, 0xbf7ba420, v147
	v_dual_add_f32 v55, v56, v55 :: v_dual_fmamk_f32 v56, v78, 0x3eb8f4ab, v113
	v_mul_f32_e32 v156, 0x3ee437d1, v188
	v_mul_f32_e32 v131, 0x3f65296c, v179
	s_delay_alu instid0(VALU_DEP_4) | instskip(NEXT) | instid1(VALU_DEP_4)
	v_add_f32_e32 v57, v58, v57
	v_dual_fmamk_f32 v58, v90, 0x3f3d2fb0, v135 :: v_dual_add_f32 v55, v56, v55
	v_fmamk_f32 v56, v79, 0x3e3c28d5, v119
	v_fmamk_f32 v64, v78, 0x3f65296c, v156
	v_dual_mul_f32 v129, 0xbf06c442, v174 :: v_dual_mul_f32 v206, 0xbf06c442, v171
	s_delay_alu instid0(VALU_DEP_4) | instskip(NEXT) | instid1(VALU_DEP_4)
	v_dual_add_f32 v57, v58, v57 :: v_dual_mul_f32 v158, 0xbf59a7d5, v194
	v_dual_add_f32 v55, v56, v55 :: v_dual_fmamk_f32 v56, v81, 0xbf2c7751, v114
	v_fmamk_f32 v58, v89, 0xbe8c1d8e, v122
	v_mul_f32_e32 v116, 0x3f3d2fb0, v65
	v_mul_f32_e32 v118, 0x3ee437d1, v180
	v_dual_mul_f32 v197, 0x3f4c4adb, v178 :: v_dual_add_f32 v30, v30, v28
	v_add_f32_e32 v55, v56, v55
	v_fmamk_f32 v56, v84, 0x3f763a35, v115
	v_mul_f32_e32 v199, 0xbf4c4adb, v155
	v_mul_f32_e32 v117, 0xbf7ba420, v177
	;; [unrolled: 1-line block ×4, first 2 shown]
	v_add_f32_e32 v56, v56, v55
	v_fmamk_f32 v55, v80, 0x3f4c4adb, v123
	v_add_f32_e32 v30, v36, v30
	v_dual_mul_f32 v173, 0xbf1a4643, v194 :: v_dual_fmamk_f32 v182, v83, 0xbf1a4643, v199
	v_mul_f32_e32 v189, 0x3f763a35, v167
	s_delay_alu instid0(VALU_DEP_4)
	v_add_f32_e32 v55, v29, v55
	v_mul_f32_e32 v157, 0xbe8c1d8e, v66
	v_fmamk_f32 v61, v76, 0xbf06c442, v158
	v_mul_f32_e32 v181, 0x3f2c7751, v179
	v_mul_f32_e32 v159, 0x3f3d2fb0, v192
	v_add_f32_e32 v55, v59, v55
	v_fmamk_f32 v59, v77, 0x3eb8f4ab, v109
	v_mul_f32_e32 v124, 0xbf65296c, v174
	v_mul_f32_e32 v160, 0x3ee437d1, v187
	;; [unrolled: 1-line block ×4, first 2 shown]
	v_add_f32_e32 v55, v59, v55
	v_fmamk_f32 v59, v75, 0x3f06c442, v110
	v_mul_f32_e32 v150, 0xbf7ba420, v192
	v_mul_f32_e32 v133, 0xbe3c28d5, v175
	;; [unrolled: 1-line block ×4, first 2 shown]
	v_add_f32_e32 v59, v59, v55
	v_add_f32_e32 v55, v58, v57
	v_dual_mul_f32 v213, 0xbf7ba420, v187 :: v_dual_add_f32 v30, v38, v30
	v_mul_f32_e32 v148, 0xbf7ba420, v194
	s_delay_alu instid0(VALU_DEP_4) | instskip(NEXT) | instid1(VALU_DEP_3)
	v_dual_add_f32 v58, v60, v59 :: v_dual_fmamk_f32 v59, v79, 0x3f2c7751, v116
	v_dual_fmamk_f32 v183, v86, 0xbe8c1d8e, v191 :: v_dual_add_f32 v30, v32, v30
	v_mul_f32_e32 v163, 0x3dbcf732, v65
	v_mul_f32_e32 v193, 0x3eb8f4ab, v174
	s_delay_alu instid0(VALU_DEP_4) | instskip(SKIP_3) | instid1(VALU_DEP_4)
	v_dual_add_f32 v58, v59, v58 :: v_dual_fmamk_f32 v59, v81, 0x3e3c28d5, v117
	v_mul_f32_e32 v143, 0x3f6eb680, v177
	v_mul_f32_e32 v190, 0x3e3c28d5, v167
	v_dual_mul_f32 v153, 0x3f6eb680, v187 :: v_dual_mul_f32 v168, 0x3f6eb680, v65
	v_dual_add_f32 v58, v59, v58 :: v_dual_fmamk_f32 v59, v84, 0xbf65296c, v118
	v_mul_f32_e32 v202, 0xbf7ee86f, v178
	v_mul_f32_e32 v138, 0xbf4c4adb, v179
	v_fmamk_f32 v60, v83, 0xbe8c1d8e, v139
	s_delay_alu instid0(VALU_DEP_4) | instskip(SKIP_3) | instid1(VALU_DEP_3)
	v_dual_mul_f32 v145, 0x3f2c7751, v167 :: v_dual_add_f32 v58, v59, v58
	v_fmamk_f32 v59, v80, 0x3f763a35, v157
	v_dual_fmamk_f32 v63, v86, 0x3ee437d1, v124 :: v_dual_mul_f32 v184, 0x3ee437d1, v66
	v_mul_f32_e32 v169, 0x3dbcf732, v177
	v_dual_mul_f32 v172, 0xbf59a7d5, v65 :: v_dual_add_f32 v59, v29, v59
	v_dual_mul_f32 v149, 0xbe8c1d8e, v192 :: v_dual_mul_f32 v216, 0xbe8c1d8e, v65
	v_mul_f32_e32 v203, 0x3ee437d1, v177
	v_mul_f32_e32 v151, 0xbe8c1d8e, v187
	s_delay_alu instid0(VALU_DEP_4) | instskip(SKIP_4) | instid1(VALU_DEP_4)
	v_add_f32_e32 v59, v61, v59
	v_fmamk_f32 v61, v77, 0xbf2c7751, v159
	v_mul_f32_e32 v214, 0xbf59a7d5, v188
	v_fmamk_f32 v208, v81, 0xbf65296c, v203
	v_mul_f32_e32 v185, 0xbf7ee86f, v154
	v_dual_mul_f32 v188, 0xbe8c1d8e, v188 :: v_dual_add_f32 v59, v61, v59
	v_fmamk_f32 v61, v75, 0x3f65296c, v160
	v_mul_f32_e32 v165, 0xbf1a4643, v177
	v_add_f32_e32 v31, v31, v29
	v_mul_f32_e32 v195, 0xbf06c442, v179
	v_mul_f32_e32 v211, 0x3dbcf732, v194
	v_add_f32_e32 v59, v61, v59
	v_fmamk_f32 v61, v78, 0x3e3c28d5, v161
	v_add_f32_e32 v31, v37, v31
	v_fmac_f32_e32 v99, 0xbf763a35, v81
	v_mul_f32_e32 v201, 0xbeb8f4ab, v171
	v_mul_f32_e32 v215, 0xbf2c7751, v154
	v_add_f32_e32 v59, v61, v59
	v_fmamk_f32 v61, v79, 0xbf7ee86f, v163
	v_add_f32_e32 v31, v39, v31
	v_mul_f32_e32 v217, 0xbf7ee86f, v155
	v_fmac_f32_e32 v110, 0xbf06c442, v75
	v_fmac_f32_e32 v107, 0x3f65296c, v76
	v_add_f32_e32 v59, v61, v59
	v_fmamk_f32 v61, v81, 0x3eb8f4ab, v143
	v_dual_mul_f32 v176, 0x3dbcf732, v66 :: v_dual_add_f32 v31, v33, v31
	v_fmac_f32_e32 v97, 0xbf06c442, v77
	v_fmac_f32_e32 v113, 0xbeb8f4ab, v78
	s_delay_alu instid0(VALU_DEP_4)
	v_add_f32_e32 v59, v61, v59
	v_fmamk_f32 v61, v84, 0x3f4c4adb, v144
	v_mul_f32_e32 v137, 0xbf4c4adb, v154
	v_add_f32_e32 v31, v35, v31
	v_mul_f32_e32 v134, 0x3f7ee86f, v171
	v_mul_f32_e32 v35, 0xbf2c7751, v155
	v_fmac_f32_e32 v103, 0xbf4c4adb, v78
	v_fmamk_f32 v57, v82, 0xbf1a4643, v137
	v_fmac_f32_e32 v121, 0xbf06c442, v80
	v_mul_f32_e32 v136, 0xbeb8f4ab, v178
	v_fmac_f32_e32 v116, 0xbf2c7751, v79
	v_fmac_f32_e32 v115, 0xbf763a35, v84
	v_dual_add_f32 v57, v28, v57 :: v_dual_mul_f32 v166, 0x3f3d2fb0, v180
	v_mul_f32_e32 v204, 0xbf65296c, v175
	v_fmamk_f32 v132, v76, 0x3f4c4adb, v173
	s_delay_alu instid0(VALU_DEP_3) | instskip(SKIP_4) | instid1(VALU_DEP_4)
	v_dual_mul_f32 v198, 0xbf65296c, v154 :: v_dual_add_f32 v57, v60, v57
	v_fmamk_f32 v60, v85, 0x3f6eb680, v128
	v_mul_f32_e32 v170, 0xbf59a7d5, v180
	v_mul_f32_e32 v210, 0x3f3d2fb0, v66
	;; [unrolled: 1-line block ×3, first 2 shown]
	v_dual_mul_f32 v212, 0xbf1a4643, v192 :: v_dual_add_f32 v57, v60, v57
	v_fmamk_f32 v60, v86, 0xbf59a7d5, v129
	v_fmamk_f32 v196, v78, 0xbf06c442, v214
	v_add_f32_e32 v30, v34, v30
	v_fmamk_f32 v34, v83, 0x3f3d2fb0, v35
	s_delay_alu instid0(VALU_DEP_4) | instskip(SKIP_1) | instid1(VALU_DEP_4)
	v_dual_fmac_f32 v94, 0xbe3c28d5, v80 :: v_dual_add_f32 v57, v60, v57
	v_fmamk_f32 v60, v87, 0x3dbcf732, v140
	v_add_f32_e32 v30, v44, v30
	v_mul_f32_e32 v44, 0xbf7ee86f, v174
	v_fmamk_f32 v207, v83, 0x3dbcf732, v217
	s_delay_alu instid0(VALU_DEP_4) | instskip(SKIP_4) | instid1(VALU_DEP_4)
	v_dual_mul_f32 v32, 0xbf7ba420, v180 :: v_dual_add_f32 v57, v60, v57
	v_fmamk_f32 v60, v88, 0x3f3d2fb0, v141
	v_add_f32_e32 v30, v46, v30
	v_fma_f32 v46, 0xbf1a4643, v83, -v199
	v_mul_f32_e32 v154, 0xbeb8f4ab, v154
	v_dual_fmac_f32 v96, 0x3eb8f4ab, v76 :: v_dual_add_f32 v57, v60, v57
	v_fmamk_f32 v60, v90, 0xbf7ba420, v142
	v_dual_add_f32 v30, v40, v30 :: v_dual_mul_f32 v37, 0xbf1a4643, v65
	v_mul_f32_e32 v40, 0xbf763a35, v175
	v_fmac_f32_e32 v117, 0xbe3c28d5, v81
	s_delay_alu instid0(VALU_DEP_4) | instskip(NEXT) | instid1(VALU_DEP_4)
	v_dual_add_f32 v57, v60, v57 :: v_dual_fmamk_f32 v60, v89, 0x3ee437d1, v131
	v_add_f32_e32 v30, v42, v30
	v_mul_f32_e32 v36, 0xbf59a7d5, v177
	v_fmac_f32_e32 v106, 0x3f7ee86f, v84
	s_delay_alu instid0(VALU_DEP_4)
	v_dual_fmac_f32 v98, 0x3f2c7751, v75 :: v_dual_add_f32 v57, v60, v57
	v_fmamk_f32 v60, v82, 0xbe8c1d8e, v162
	v_add_f32_e32 v8, v8, v30
	v_fmamk_f32 v38, v81, 0x3f06c442, v36
	v_mul_f32_e32 v42, 0xbe3c28d5, v179
	v_fmac_f32_e32 v108, 0xbf7ee86f, v77
	v_add_f32_e32 v60, v28, v60
	v_add_f32_e32 v8, v10, v8
	v_fmac_f32_e32 v100, 0x3f65296c, v79
	v_fmac_f32_e32 v114, 0x3f2c7751, v81
	;; [unrolled: 1-line block ×3, first 2 shown]
	v_add_f32_e32 v60, v62, v60
	v_fmamk_f32 v62, v85, 0x3f3d2fb0, v145
	v_add_f32_e32 v4, v4, v8
	v_fmac_f32_e32 v112, 0x3f4c4adb, v75
	v_fmac_f32_e32 v158, 0x3f06c442, v76
	v_fmac_f32_e32 v160, 0xbf65296c, v75
	v_add_f32_e32 v62, v62, v60
	v_dual_add_f32 v60, v61, v59 :: v_dual_fmamk_f32 v59, v80, 0x3f7ee86f, v176
	v_add_f32_e32 v4, v6, v4
	s_delay_alu instid0(VALU_DEP_3) | instskip(NEXT) | instid1(VALU_DEP_3)
	v_dual_fmac_f32 v144, 0xbf4c4adb, v84 :: v_dual_add_f32 v61, v63, v62
	v_dual_fmamk_f32 v62, v87, 0xbf7ba420, v133 :: v_dual_add_f32 v59, v29, v59
	v_fmamk_f32 v63, v76, 0x3e3c28d5, v148
	s_delay_alu instid0(VALU_DEP_4) | instskip(NEXT) | instid1(VALU_DEP_3)
	v_dual_add_f32 v0, v0, v4 :: v_dual_fmamk_f32 v39, v79, 0x3f4c4adb, v37
	v_dual_add_f32 v61, v62, v61 :: v_dual_fmamk_f32 v62, v88, 0x3dbcf732, v134
	s_delay_alu instid0(VALU_DEP_3) | instskip(NEXT) | instid1(VALU_DEP_3)
	v_add_f32_e32 v59, v63, v59
	v_dual_fmamk_f32 v63, v77, 0xbf763a35, v149 :: v_dual_add_f32 v0, v2, v0
	s_delay_alu instid0(VALU_DEP_3) | instskip(NEXT) | instid1(VALU_DEP_2)
	v_dual_fmac_f32 v148, 0xbe3c28d5, v76 :: v_dual_add_f32 v61, v62, v61
	v_dual_fmamk_f32 v62, v90, 0x3f6eb680, v136 :: v_dual_add_f32 v59, v63, v59
	s_delay_alu instid0(VALU_DEP_3) | instskip(SKIP_1) | instid1(VALU_DEP_3)
	v_dual_fmamk_f32 v63, v75, 0xbeb8f4ab, v153 :: v_dual_add_f32 v0, v49, v0
	v_add_f32_e32 v31, v45, v31
	v_dual_add_f32 v61, v62, v61 :: v_dual_fmamk_f32 v62, v89, 0xbf1a4643, v138
	s_delay_alu instid0(VALU_DEP_3) | instskip(SKIP_1) | instid1(VALU_DEP_4)
	v_add_f32_e32 v63, v63, v59
	v_fmac_f32_e32 v109, 0xbeb8f4ab, v77
	v_add_f32_e32 v31, v47, v31
	v_fmac_f32_e32 v119, 0xbe3c28d5, v79
	v_add_f32_e32 v59, v62, v61
	v_dual_fmamk_f32 v61, v82, 0x3dbcf732, v185 :: v_dual_add_f32 v62, v64, v63
	v_fmamk_f32 v63, v79, 0x3f06c442, v172
	v_add_f32_e32 v31, v41, v31
	v_fma_f32 v4, 0xbf7ba420, v82, -v102
	s_delay_alu instid0(VALU_DEP_4) | instskip(NEXT) | instid1(VALU_DEP_4)
	v_dual_add_f32 v61, v28, v61 :: v_dual_fmamk_f32 v64, v83, 0xbf7ba420, v186
	v_add_f32_e32 v62, v63, v62
	s_delay_alu instid0(VALU_DEP_4) | instskip(SKIP_3) | instid1(VALU_DEP_4)
	v_add_f32_e32 v43, v43, v31
	v_fmac_f32_e32 v161, 0xbe3c28d5, v78
	v_fma_f32 v49, 0x3dbcf732, v83, -v217
	v_dual_add_f32 v61, v64, v61 :: v_dual_fmamk_f32 v64, v85, 0xbe8c1d8e, v189
	v_add_f32_e32 v9, v9, v43
	v_fma_f32 v43, 0xbf59a7d5, v88, -v206
	v_fmac_f32_e32 v37, 0xbf4c4adb, v79
	s_delay_alu instid0(VALU_DEP_4) | instskip(NEXT) | instid1(VALU_DEP_4)
	v_dual_fmac_f32 v118, 0x3f65296c, v84 :: v_dual_add_f32 v61, v64, v61
	v_dual_fmamk_f32 v64, v86, 0x3f6eb680, v193 :: v_dual_add_f32 v9, v11, v9
	v_add_f32_e32 v11, v29, v94
	v_fmac_f32_e32 v143, 0xbeb8f4ab, v81
	s_delay_alu instid0(VALU_DEP_3) | instskip(NEXT) | instid1(VALU_DEP_4)
	v_dual_fmac_f32 v176, 0xbf7ee86f, v80 :: v_dual_add_f32 v61, v64, v61
	v_dual_fmamk_f32 v64, v87, 0x3ee437d1, v204 :: v_dual_add_f32 v5, v5, v9
	s_delay_alu instid0(VALU_DEP_4) | instskip(SKIP_1) | instid1(VALU_DEP_3)
	v_add_f32_e32 v9, v96, v11
	v_fmac_f32_e32 v172, 0xbf06c442, v79
	v_dual_fmac_f32 v156, 0xbf65296c, v78 :: v_dual_add_f32 v61, v64, v61
	s_delay_alu instid0(VALU_DEP_4) | instskip(NEXT) | instid1(VALU_DEP_4)
	v_dual_fmamk_f32 v64, v88, 0xbf59a7d5, v206 :: v_dual_add_f32 v5, v7, v5
	v_add_f32_e32 v7, v97, v9
	v_fmac_f32_e32 v36, 0xbf06c442, v81
	s_delay_alu instid0(VALU_DEP_3) | instskip(SKIP_4) | instid1(VALU_DEP_4)
	v_dual_add_f32 v61, v64, v61 :: v_dual_fmamk_f32 v64, v90, 0xbf1a4643, v197
	v_fmamk_f32 v63, v81, 0xbf4c4adb, v165
	v_add_f32_e32 v1, v1, v5
	v_add_f32_e32 v5, v98, v7
	v_fmamk_f32 v7, v89, 0xbf7ba420, v42
	v_dual_add_f32 v61, v64, v61 :: v_dual_add_f32 v62, v63, v62
	v_fmamk_f32 v63, v84, 0xbf2c7751, v166
	v_dual_fmamk_f32 v64, v89, 0x3f3d2fb0, v181 :: v_dual_add_f32 v1, v3, v1
	v_add_f32_e32 v3, v103, v5
	v_fma_f32 v5, 0xbf59a7d5, v85, -v95
	s_delay_alu instid0(VALU_DEP_4) | instskip(NEXT) | instid1(VALU_DEP_4)
	v_dual_add_f32 v62, v63, v62 :: v_dual_fmamk_f32 v63, v80, 0x3f65296c, v184
	v_dual_add_f32 v61, v64, v61 :: v_dual_fmamk_f32 v64, v82, 0x3ee437d1, v198
	s_delay_alu instid0(VALU_DEP_4) | instskip(SKIP_1) | instid1(VALU_DEP_4)
	v_add_f32_e32 v2, v100, v3
	v_add_f32_e32 v3, v28, v4
	;; [unrolled: 1-line block ×3, first 2 shown]
	v_fma_f32 v4, 0x3f6eb680, v83, -v101
	v_add_f32_e32 v64, v28, v64
	v_dual_add_f32 v2, v99, v2 :: v_dual_fmac_f32 v165, 0x3f4c4adb, v81
	s_delay_alu instid0(VALU_DEP_4) | instskip(NEXT) | instid1(VALU_DEP_3)
	v_dual_add_f32 v63, v132, v63 :: v_dual_fmamk_f32 v132, v77, 0xbe3c28d5, v150
	v_add_f32_e32 v64, v182, v64
	v_fmamk_f32 v182, v85, 0xbf7ba420, v190
	s_delay_alu instid0(VALU_DEP_4) | instskip(NEXT) | instid1(VALU_DEP_4)
	v_dual_add_f32 v4, v4, v3 :: v_dual_add_f32 v3, v106, v2
	v_dual_add_f32 v63, v132, v63 :: v_dual_fmamk_f32 v132, v75, 0xbf763a35, v151
	s_delay_alu instid0(VALU_DEP_3) | instskip(NEXT) | instid1(VALU_DEP_3)
	v_add_f32_e32 v182, v182, v64
	v_add_f32_e32 v4, v5, v4
	v_fma_f32 v5, 0x3f3d2fb0, v86, -v91
	v_fmamk_f32 v41, v84, 0x3e3c28d5, v32
	v_dual_add_f32 v63, v132, v63 :: v_dual_fmamk_f32 v132, v78, 0xbf2c7751, v152
	v_fma_f32 v2, 0xbf59a7d5, v82, -v125
	s_delay_alu instid0(VALU_DEP_4) | instskip(SKIP_4) | instid1(VALU_DEP_4)
	v_add_f32_e32 v4, v5, v4
	v_fma_f32 v5, 0xbf1a4643, v87, -v92
	v_fmac_f32_e32 v153, 0x3eb8f4ab, v75
	v_dual_add_f32 v63, v132, v63 :: v_dual_fmamk_f32 v132, v79, 0x3eb8f4ab, v168
	v_add_f32_e32 v2, v28, v2
	v_add_f32_e32 v4, v5, v4
	v_fma_f32 v5, 0x3ee437d1, v88, -v93
	s_delay_alu instid0(VALU_DEP_4) | instskip(SKIP_2) | instid1(VALU_DEP_4)
	v_dual_fmac_f32 v184, 0xbf65296c, v80 :: v_dual_add_f32 v63, v132, v63
	v_fmamk_f32 v132, v81, 0x3f7ee86f, v169
	v_fmac_f32_e32 v166, 0x3f2c7751, v84
	v_add_f32_e32 v4, v5, v4
	v_fma_f32 v5, 0xbe8c1d8e, v90, -v104
	s_delay_alu instid0(VALU_DEP_4) | instskip(SKIP_2) | instid1(VALU_DEP_4)
	v_dual_fmac_f32 v152, 0x3f2c7751, v78 :: v_dual_add_f32 v63, v132, v63
	v_fmamk_f32 v132, v84, 0x3f06c442, v170
	v_fmac_f32_e32 v150, 0x3e3c28d5, v77
	v_add_f32_e32 v4, v5, v4
	v_fma_f32 v5, 0x3dbcf732, v89, -v105
	v_fmac_f32_e32 v168, 0xbeb8f4ab, v79
	v_add_f32_e32 v64, v132, v63
	v_dual_fmamk_f32 v63, v80, 0x3f2c7751, v210 :: v_dual_add_f32 v132, v183, v182
	v_fmamk_f32 v182, v87, 0x3f3d2fb0, v200
	v_fmamk_f32 v183, v76, 0x3f7ee86f, v211
	s_delay_alu instid0(VALU_DEP_3) | instskip(SKIP_1) | instid1(VALU_DEP_4)
	v_dual_fmac_f32 v210, 0xbf2c7751, v80 :: v_dual_add_f32 v63, v29, v63
	v_fmac_f32_e32 v170, 0xbf06c442, v84
	v_add_f32_e32 v132, v182, v132
	v_fmamk_f32 v182, v88, 0x3f6eb680, v201
	v_fma_f32 v35, 0x3f3d2fb0, v83, -v35
	v_add_f32_e32 v63, v183, v63
	v_fmamk_f32 v183, v77, 0x3f4c4adb, v212
	v_fmac_f32_e32 v212, 0xbf4c4adb, v77
	v_add_f32_e32 v132, v182, v132
	v_fmamk_f32 v182, v90, 0x3dbcf732, v202
	s_delay_alu instid0(VALU_DEP_4) | instskip(SKIP_1) | instid1(VALU_DEP_3)
	v_dual_fmac_f32 v32, 0xbe3c28d5, v84 :: v_dual_add_f32 v63, v183, v63
	v_fmamk_f32 v183, v75, 0x3e3c28d5, v213
	v_dual_fmac_f32 v213, 0xbe3c28d5, v75 :: v_dual_add_f32 v132, v182, v132
	s_delay_alu instid0(VALU_DEP_2) | instskip(NEXT) | instid1(VALU_DEP_1)
	v_dual_fmamk_f32 v182, v89, 0xbf59a7d5, v195 :: v_dual_add_f32 v183, v183, v63
	v_dual_fmac_f32 v214, 0x3f06c442, v78 :: v_dual_add_f32 v183, v196, v183
	v_fmamk_f32 v196, v79, 0xbf763a35, v216
	v_fmac_f32_e32 v216, 0x3f763a35, v79
	s_delay_alu instid0(VALU_DEP_2) | instskip(NEXT) | instid1(VALU_DEP_1)
	v_dual_add_f32 v196, v196, v183 :: v_dual_mul_f32 v183, 0xbe3c28d5, v174
	v_add_f32_e32 v208, v208, v196
	v_dual_mul_f32 v196, 0x3f06c442, v175 :: v_dual_add_f32 v63, v182, v132
	v_mul_f32_e32 v182, 0xbf4c4adb, v167
	v_fmamk_f32 v132, v82, 0x3f3d2fb0, v215
	v_fmamk_f32 v219, v86, 0xbf7ba420, v183
	s_delay_alu instid0(VALU_DEP_3) | instskip(NEXT) | instid1(VALU_DEP_3)
	v_fmamk_f32 v209, v85, 0xbf1a4643, v182
	v_add_f32_e32 v205, v28, v132
	s_delay_alu instid0(VALU_DEP_1) | instskip(NEXT) | instid1(VALU_DEP_1)
	v_dual_mul_f32 v132, 0x3f6eb680, v180 :: v_dual_add_f32 v207, v207, v205
	v_fmamk_f32 v218, v84, 0xbeb8f4ab, v132
	v_mul_f32_e32 v205, 0x3f6eb680, v66
	s_delay_alu instid0(VALU_DEP_3) | instskip(NEXT) | instid1(VALU_DEP_3)
	v_dual_fmac_f32 v132, 0x3eb8f4ab, v84 :: v_dual_add_f32 v209, v209, v207
	v_add_f32_e32 v66, v218, v208
	s_delay_alu instid0(VALU_DEP_3) | instskip(SKIP_4) | instid1(VALU_DEP_4)
	v_fmamk_f32 v208, v80, 0x3eb8f4ab, v205
	v_mul_f32_e32 v207, 0x3f3d2fb0, v194
	v_fmamk_f32 v218, v87, 0xbf59a7d5, v196
	v_dual_add_f32 v209, v219, v209 :: v_dual_mul_f32 v194, 0x3f763a35, v171
	v_fmac_f32_e32 v205, 0xbeb8f4ab, v80
	v_fmamk_f32 v220, v76, 0x3f2c7751, v207
	s_delay_alu instid0(VALU_DEP_3) | instskip(NEXT) | instid1(VALU_DEP_4)
	v_dual_fmac_f32 v207, 0xbf2c7751, v76 :: v_dual_add_f32 v218, v218, v209
	v_fmamk_f32 v221, v88, 0xbe8c1d8e, v194
	v_mul_f32_e32 v209, 0x3dbcf732, v187
	v_add_f32_e32 v219, v29, v208
	v_mul_f32_e32 v208, 0x3ee437d1, v192
	v_mul_f32_e32 v192, 0x3f65296c, v178
	v_dual_add_f32 v218, v221, v218 :: v_dual_mul_f32 v187, 0x3eb8f4ab, v179
	s_delay_alu instid0(VALU_DEP_3) | instskip(NEXT) | instid1(VALU_DEP_3)
	v_dual_add_f32 v219, v220, v219 :: v_dual_fmamk_f32 v220, v77, 0x3f65296c, v208
	v_fmamk_f32 v221, v90, 0x3ee437d1, v192
	s_delay_alu instid0(VALU_DEP_2) | instskip(NEXT) | instid1(VALU_DEP_2)
	v_dual_fmac_f32 v208, 0xbf65296c, v77 :: v_dual_add_f32 v219, v220, v219
	v_add_f32_e32 v218, v221, v218
	v_fmamk_f32 v221, v89, 0x3f6eb680, v187
	v_fmamk_f32 v220, v75, 0x3f7ee86f, v209
	v_fmac_f32_e32 v209, 0xbf7ee86f, v75
	s_delay_alu instid0(VALU_DEP_3) | instskip(NEXT) | instid1(VALU_DEP_3)
	v_add_f32_e32 v65, v221, v218
	v_dual_add_f32 v219, v220, v219 :: v_dual_fmamk_f32 v220, v78, 0x3f763a35, v188
	v_fmac_f32_e32 v188, 0xbf763a35, v78
	s_delay_alu instid0(VALU_DEP_2) | instskip(NEXT) | instid1(VALU_DEP_1)
	v_dual_add_f32 v218, v220, v219 :: v_dual_fmac_f32 v169, 0xbf7ee86f, v81
	v_add_f32_e32 v33, v39, v218
	v_fmamk_f32 v39, v82, 0x3f6eb680, v154
	s_delay_alu instid0(VALU_DEP_1) | instskip(SKIP_1) | instid1(VALU_DEP_2)
	v_dual_add_f32 v33, v38, v33 :: v_dual_add_f32 v38, v28, v39
	v_mul_f32_e32 v39, 0xbf65296c, v167
	v_dual_add_f32 v31, v41, v33 :: v_dual_add_f32 v34, v34, v38
	s_delay_alu instid0(VALU_DEP_2) | instskip(SKIP_1) | instid1(VALU_DEP_2)
	v_fmamk_f32 v38, v85, 0x3ee437d1, v39
	v_mul_f32_e32 v41, 0xbf06c442, v178
	v_add_f32_e32 v34, v38, v34
	v_fmamk_f32 v38, v86, 0x3dbcf732, v44
	s_delay_alu instid0(VALU_DEP_3) | instskip(NEXT) | instid1(VALU_DEP_2)
	v_fmamk_f32 v8, v90, 0xbf59a7d5, v41
	v_dual_add_f32 v33, v38, v34 :: v_dual_fmamk_f32 v34, v87, 0xbe8c1d8e, v40
	v_mul_f32_e32 v38, 0xbf4c4adb, v171
	s_delay_alu instid0(VALU_DEP_1) | instskip(SKIP_1) | instid1(VALU_DEP_2)
	v_dual_add_f32 v30, v34, v33 :: v_dual_fmamk_f32 v33, v88, 0xbf1a4643, v38
	v_fma_f32 v34, 0xbf7ba420, v83, -v186
	v_add_f32_e32 v10, v33, v30
	v_fma_f32 v33, 0xbf59a7d5, v83, -v164
	s_delay_alu instid0(VALU_DEP_2) | instskip(SKIP_2) | instid1(VALU_DEP_3)
	v_add_f32_e32 v6, v8, v10
	v_fma_f32 v8, 0xbf7ba420, v88, -v147
	v_fma_f32 v10, 0xbe8c1d8e, v83, -v139
	v_add_f32_e32 v30, v7, v6
	v_add_f32_e32 v6, v29, v121
	v_fma_f32 v7, 0x3ee437d1, v83, -v126
	s_delay_alu instid0(VALU_DEP_2) | instskip(NEXT) | instid1(VALU_DEP_2)
	v_add_f32_e32 v6, v107, v6
	v_add_f32_e32 v2, v7, v2
	v_fma_f32 v7, 0x3dbcf732, v85, -v127
	s_delay_alu instid0(VALU_DEP_3) | instskip(NEXT) | instid1(VALU_DEP_2)
	v_add_f32_e32 v6, v108, v6
	v_add_f32_e32 v2, v7, v2
	v_fma_f32 v7, 0xbf1a4643, v86, -v130
	s_delay_alu instid0(VALU_DEP_3) | instskip(NEXT) | instid1(VALU_DEP_2)
	;; [unrolled: 4-line block ×3, first 2 shown]
	v_add_f32_e32 v6, v113, v6
	v_add_f32_e32 v7, v7, v2
	s_delay_alu instid0(VALU_DEP_2) | instskip(SKIP_1) | instid1(VALU_DEP_2)
	v_add_f32_e32 v6, v119, v6
	v_add_f32_e32 v2, v5, v4
	;; [unrolled: 1-line block ×3, first 2 shown]
	s_delay_alu instid0(VALU_DEP_4) | instskip(SKIP_1) | instid1(VALU_DEP_3)
	v_add_f32_e32 v6, v8, v7
	v_fma_f32 v7, 0x3f3d2fb0, v90, -v135
	v_add_f32_e32 v5, v115, v4
	v_fma_f32 v4, 0xbf1a4643, v82, -v137
	s_delay_alu instid0(VALU_DEP_3) | instskip(SKIP_1) | instid1(VALU_DEP_1)
	v_add_f32_e32 v6, v7, v6
	v_fma_f32 v7, 0xbe8c1d8e, v89, -v122
	v_dual_add_f32 v9, v28, v4 :: v_dual_add_f32 v4, v7, v6
	s_delay_alu instid0(VALU_DEP_1) | instskip(SKIP_3) | instid1(VALU_DEP_1)
	v_add_f32_e32 v7, v10, v9
	v_fma_f32 v10, 0xbf7ba420, v90, -v142
	v_fmac_f32_e32 v111, 0x3f7ee86f, v78
	v_fmac_f32_e32 v123, 0xbf4c4adb, v80
	v_dual_add_f32 v1, v50, v1 :: v_dual_add_f32 v8, v29, v123
	s_delay_alu instid0(VALU_DEP_1) | instskip(NEXT) | instid1(VALU_DEP_1)
	v_add_f32_e32 v8, v120, v8
	v_add_f32_e32 v6, v109, v8
	v_fma_f32 v8, 0x3f6eb680, v85, -v128
	s_delay_alu instid0(VALU_DEP_1) | instskip(SKIP_1) | instid1(VALU_DEP_1)
	v_dual_add_f32 v6, v110, v6 :: v_dual_add_f32 v7, v8, v7
	v_fma_f32 v8, 0xbf59a7d5, v86, -v129
	v_add_f32_e32 v7, v8, v7
	v_fma_f32 v8, 0x3dbcf732, v87, -v140
	s_delay_alu instid0(VALU_DEP_1) | instskip(SKIP_1) | instid1(VALU_DEP_1)
	v_add_f32_e32 v7, v8, v7
	v_fma_f32 v8, 0x3f3d2fb0, v88, -v141
	v_dual_fmac_f32 v157, 0xbf763a35, v80 :: v_dual_add_f32 v8, v8, v7
	s_delay_alu instid0(VALU_DEP_1) | instskip(SKIP_2) | instid1(VALU_DEP_2)
	v_dual_add_f32 v9, v29, v157 :: v_dual_add_f32 v8, v10, v8
	v_add_f32_e32 v6, v111, v6
	v_fma_f32 v10, 0x3ee437d1, v89, -v131
	v_dual_add_f32 v9, v158, v9 :: v_dual_add_f32 v6, v116, v6
	s_delay_alu instid0(VALU_DEP_1) | instskip(NEXT) | instid1(VALU_DEP_1)
	v_add_f32_e32 v6, v117, v6
	v_add_f32_e32 v7, v118, v6
	v_fma_f32 v6, 0xbe8c1d8e, v82, -v162
	s_delay_alu instid0(VALU_DEP_1) | instskip(NEXT) | instid1(VALU_DEP_1)
	v_dual_add_f32 v11, v28, v6 :: v_dual_add_f32 v6, v10, v8
	v_add_f32_e32 v10, v33, v11
	v_fma_f32 v11, 0x3f3d2fb0, v85, -v145
	s_delay_alu instid0(VALU_DEP_1) | instskip(NEXT) | instid1(VALU_DEP_1)
	v_dual_fmac_f32 v159, 0x3f2c7751, v77 :: v_dual_add_f32 v10, v11, v10
	v_add_f32_e32 v9, v159, v9
	v_fma_f32 v11, 0x3ee437d1, v86, -v124
	s_delay_alu instid0(VALU_DEP_1) | instskip(SKIP_2) | instid1(VALU_DEP_2)
	v_dual_add_f32 v9, v160, v9 :: v_dual_add_f32 v10, v11, v10
	v_fma_f32 v11, 0xbf7ba420, v87, -v133
	v_fmac_f32_e32 v163, 0x3f7ee86f, v79
	v_dual_add_f32 v9, v161, v9 :: v_dual_add_f32 v10, v11, v10
	v_fma_f32 v11, 0x3dbcf732, v88, -v134
	v_add_f32_e32 v33, v29, v176
	s_delay_alu instid0(VALU_DEP_3) | instskip(NEXT) | instid1(VALU_DEP_3)
	v_add_f32_e32 v9, v163, v9
	v_add_f32_e32 v10, v11, v10
	v_fma_f32 v11, 0x3f6eb680, v90, -v136
	s_delay_alu instid0(VALU_DEP_3) | instskip(NEXT) | instid1(VALU_DEP_1)
	v_add_f32_e32 v8, v143, v9
	v_dual_add_f32 v10, v11, v10 :: v_dual_add_f32 v9, v144, v8
	v_fma_f32 v8, 0x3dbcf732, v82, -v185
	v_fma_f32 v11, 0xbf1a4643, v89, -v138
	s_delay_alu instid0(VALU_DEP_2) | instskip(NEXT) | instid1(VALU_DEP_1)
	v_dual_fmac_f32 v149, 0x3f763a35, v77 :: v_dual_add_f32 v8, v28, v8
	v_add_f32_e32 v8, v34, v8
	v_fma_f32 v34, 0xbe8c1d8e, v85, -v189
	s_delay_alu instid0(VALU_DEP_1) | instskip(SKIP_1) | instid1(VALU_DEP_1)
	v_add_f32_e32 v8, v34, v8
	v_fma_f32 v34, 0x3f6eb680, v86, -v193
	v_add_f32_e32 v8, v34, v8
	v_fma_f32 v34, 0x3ee437d1, v87, -v204
	s_delay_alu instid0(VALU_DEP_1) | instskip(NEXT) | instid1(VALU_DEP_1)
	v_dual_add_f32 v33, v148, v33 :: v_dual_add_f32 v34, v34, v8
	v_dual_add_f32 v8, v11, v10 :: v_dual_add_f32 v33, v149, v33
	s_delay_alu instid0(VALU_DEP_1) | instskip(NEXT) | instid1(VALU_DEP_1)
	v_add_f32_e32 v33, v153, v33
	v_add_f32_e32 v33, v156, v33
	s_delay_alu instid0(VALU_DEP_1) | instskip(NEXT) | instid1(VALU_DEP_1)
	v_add_f32_e32 v33, v172, v33
	v_dual_add_f32 v10, v165, v33 :: v_dual_add_f32 v33, v43, v34
	v_fma_f32 v34, 0xbf1a4643, v90, -v197
	s_delay_alu instid0(VALU_DEP_2) | instskip(SKIP_1) | instid1(VALU_DEP_3)
	v_add_f32_e32 v11, v166, v10
	v_fma_f32 v10, 0x3ee437d1, v82, -v198
	v_add_f32_e32 v33, v34, v33
	v_fma_f32 v34, 0x3f3d2fb0, v89, -v181
	v_add_f32_e32 v43, v29, v184
	s_delay_alu instid0(VALU_DEP_4) | instskip(NEXT) | instid1(VALU_DEP_3)
	v_add_f32_e32 v45, v28, v10
	v_dual_fmac_f32 v173, 0xbf4c4adb, v76 :: v_dual_add_f32 v10, v34, v33
	s_delay_alu instid0(VALU_DEP_1) | instskip(SKIP_3) | instid1(VALU_DEP_4)
	v_dual_add_f32 v34, v46, v45 :: v_dual_add_f32 v43, v173, v43
	v_add_f32_e32 v45, v29, v210
	v_add_f32_e32 v29, v29, v205
	v_fma_f32 v46, 0x3dbcf732, v90, -v202
	v_add_f32_e32 v33, v150, v43
	v_fma_f32 v43, 0xbf7ba420, v85, -v190
	s_delay_alu instid0(VALU_DEP_4) | instskip(NEXT) | instid1(VALU_DEP_2)
	v_add_f32_e32 v29, v207, v29
	v_add_f32_e32 v34, v43, v34
	v_fma_f32 v43, 0xbe8c1d8e, v86, -v191
	s_delay_alu instid0(VALU_DEP_1) | instskip(SKIP_2) | instid1(VALU_DEP_2)
	v_dual_add_f32 v29, v208, v29 :: v_dual_add_f32 v34, v43, v34
	v_fma_f32 v43, 0x3f3d2fb0, v87, -v200
	v_fmac_f32_e32 v151, 0x3f763a35, v75
	v_dual_add_f32 v29, v209, v29 :: v_dual_add_f32 v34, v43, v34
	s_delay_alu instid0(VALU_DEP_2) | instskip(SKIP_1) | instid1(VALU_DEP_3)
	v_add_f32_e32 v33, v151, v33
	v_fma_f32 v43, 0x3f6eb680, v88, -v201
	v_add_f32_e32 v29, v188, v29
	s_delay_alu instid0(VALU_DEP_3) | instskip(NEXT) | instid1(VALU_DEP_3)
	v_add_f32_e32 v33, v152, v33
	v_add_f32_e32 v43, v43, v34
	s_delay_alu instid0(VALU_DEP_3)
	v_add_f32_e32 v29, v37, v29
	v_fma_f32 v37, 0x3f6eb680, v89, -v187
	v_fmac_f32_e32 v203, 0x3f65296c, v81
	v_add_f32_e32 v33, v168, v33
	v_add_f32_e32 v43, v46, v43
	v_fma_f32 v46, 0xbf59a7d5, v89, -v195
	v_add_f32_e32 v36, v36, v29
	s_delay_alu instid0(VALU_DEP_4) | instskip(SKIP_1) | instid1(VALU_DEP_3)
	v_add_f32_e32 v33, v169, v33
	v_fmac_f32_e32 v211, 0xbf7ee86f, v76
	v_add_f32_e32 v36, v32, v36
	s_delay_alu instid0(VALU_DEP_3) | instskip(NEXT) | instid1(VALU_DEP_3)
	v_add_f32_e32 v34, v170, v33
	v_add_f32_e32 v45, v211, v45
	v_fma_f32 v33, 0x3f3d2fb0, v82, -v215
	s_delay_alu instid0(VALU_DEP_2) | instskip(NEXT) | instid1(VALU_DEP_2)
	v_add_f32_e32 v45, v212, v45
	v_add_f32_e32 v47, v28, v33
	;; [unrolled: 1-line block ×3, first 2 shown]
	s_delay_alu instid0(VALU_DEP_3) | instskip(NEXT) | instid1(VALU_DEP_3)
	v_add_f32_e32 v45, v213, v45
	v_add_f32_e32 v46, v49, v47
	v_fma_f32 v47, 0xbf1a4643, v85, -v182
	s_delay_alu instid0(VALU_DEP_3) | instskip(NEXT) | instid1(VALU_DEP_1)
	v_add_f32_e32 v45, v214, v45
	v_add_f32_e32 v45, v216, v45
	s_delay_alu instid0(VALU_DEP_1) | instskip(SKIP_1) | instid1(VALU_DEP_2)
	v_add_f32_e32 v43, v203, v45
	v_fma_f32 v45, 0x3f6eb680, v82, -v154
	v_add_f32_e32 v29, v132, v43
	s_delay_alu instid0(VALU_DEP_2) | instskip(SKIP_1) | instid1(VALU_DEP_2)
	v_dual_add_f32 v28, v28, v45 :: v_dual_add_f32 v45, v47, v46
	v_fma_f32 v46, 0xbf7ba420, v86, -v183
	v_add_f32_e32 v28, v35, v28
	v_fma_f32 v35, 0x3ee437d1, v85, -v39
	s_delay_alu instid0(VALU_DEP_3) | instskip(SKIP_1) | instid1(VALU_DEP_3)
	v_add_f32_e32 v39, v46, v45
	v_fma_f32 v45, 0xbf59a7d5, v87, -v196
	v_add_f32_e32 v28, v35, v28
	v_fma_f32 v35, 0x3dbcf732, v86, -v44
	s_delay_alu instid0(VALU_DEP_3) | instskip(SKIP_1) | instid1(VALU_DEP_3)
	v_add_f32_e32 v39, v45, v39
	;; [unrolled: 5-line block ×3, first 2 shown]
	v_fma_f32 v40, 0x3ee437d1, v90, -v192
	v_add_f32_e32 v28, v35, v28
	v_fma_f32 v35, 0xbf1a4643, v88, -v38
	s_delay_alu instid0(VALU_DEP_3) | instskip(SKIP_1) | instid1(VALU_DEP_3)
	v_dual_add_f32 v38, v40, v39 :: v_dual_and_b32 v39, 0xffff, v72
	v_fma_f32 v40, 0xbf7ba420, v89, -v42
	v_add_f32_e32 v28, v35, v28
	v_fma_f32 v35, 0xbf59a7d5, v90, -v41
	s_delay_alu instid0(VALU_DEP_4) | instskip(NEXT) | instid1(VALU_DEP_2)
	v_lshl_add_u32 v39, v39, 3, v71
	v_dual_add_f32 v35, v35, v28 :: v_dual_add_f32 v28, v37, v38
	s_delay_alu instid0(VALU_DEP_1)
	v_add_f32_e32 v35, v40, v35
	ds_store_2addr_b64 v39, v[0:1], v[30:31] offset1:1
	ds_store_2addr_b64 v39, v[65:66], v[63:64] offset0:2 offset1:3
	ds_store_2addr_b64 v39, v[61:62], v[59:60] offset0:4 offset1:5
	;; [unrolled: 1-line block ×7, first 2 shown]
	ds_store_b64 v39, v[35:36] offset:128
.LBB0_13:
	s_wait_alu 0xfffe
	s_or_b32 exec_lo, exec_lo, s6
	global_wb scope:SCOPE_SE
	s_wait_dscnt 0x0
	s_barrier_signal -1
	s_barrier_wait -1
	global_inv scope:SCOPE_SE
	ds_load_2addr_b64 v[0:3], v74 offset1:17
	ds_load_2addr_b64 v[4:7], v74 offset0:34 offset1:51
	ds_load_2addr_b64 v[8:11], v74 offset0:68 offset1:85
	;; [unrolled: 1-line block ×4, first 2 shown]
	s_wait_dscnt 0x3
	v_dual_mul_f32 v36, v25, v3 :: v_dual_mul_f32 v37, v27, v5
	v_dual_mul_f32 v27, v27, v4 :: v_dual_mul_f32 v38, v21, v7
	v_mul_f32_e32 v21, v21, v6
	s_wait_dscnt 0x2
	v_dual_mul_f32 v39, v23, v9 :: v_dual_mul_f32 v40, v17, v11
	s_delay_alu instid0(VALU_DEP_3) | instskip(NEXT) | instid1(VALU_DEP_2)
	v_dual_fmac_f32 v37, v26, v4 :: v_dual_fmac_f32 v38, v20, v6
	v_dual_mul_f32 v6, v17, v10 :: v_dual_fmac_f32 v39, v22, v8
	s_delay_alu instid0(VALU_DEP_3)
	v_fmac_f32_e32 v40, v16, v10
	s_wait_dscnt 0x0
	v_mul_f32_e32 v10, v15, v32
	v_fma_f32 v4, v20, v7, -v21
	v_mul_f32_e32 v7, v19, v29
	v_mul_f32_e32 v25, v25, v2
	v_dual_mul_f32 v23, v23, v8 :: v_dual_fmac_f32 v36, v24, v2
	v_fma_f32 v2, v26, v5, -v27
	v_mul_f32_e32 v8, v19, v28
	v_fma_f32 v6, v16, v11, -v6
	v_fma_f32 v10, v14, v33, -v10
	v_dual_mul_f32 v16, v52, v35 :: v_dual_fmac_f32 v7, v18, v28
	v_fma_f32 v5, v22, v9, -v23
	v_mul_f32_e32 v9, v13, v31
	v_fma_f32 v8, v18, v29, -v8
	s_delay_alu instid0(VALU_DEP_4) | instskip(SKIP_3) | instid1(VALU_DEP_3)
	v_fmac_f32_e32 v16, v51, v34
	v_dual_mul_f32 v15, v15, v33 :: v_dual_sub_f32 v18, v2, v10
	v_mul_f32_e32 v11, v13, v30
	v_dual_add_f32 v13, v39, v7 :: v_dual_mul_f32 v22, v52, v34
	v_fmac_f32_e32 v15, v14, v32
	v_add_f32_e32 v17, v0, v37
	v_fma_f32 v3, v24, v3, -v25
	s_delay_alu instid0(VALU_DEP_4) | instskip(SKIP_2) | instid1(VALU_DEP_3)
	v_fma_f32 v13, -0.5, v13, v0
	v_add_f32_e32 v24, v1, v2
	v_dual_sub_f32 v20, v15, v7 :: v_dual_fmac_f32 v9, v12, v30
	v_dual_add_f32 v25, v5, v8 :: v_dual_fmamk_f32 v14, v18, 0xbf737871, v13
	v_fma_f32 v11, v12, v31, -v11
	v_add_f32_e32 v12, v17, v39
	s_delay_alu instid0(VALU_DEP_4) | instskip(NEXT) | instid1(VALU_DEP_2)
	v_sub_f32_e32 v26, v9, v16
	v_dual_add_f32 v12, v12, v7 :: v_dual_sub_f32 v17, v5, v8
	v_add_f32_e32 v21, v37, v15
	s_delay_alu instid0(VALU_DEP_2) | instskip(NEXT) | instid1(VALU_DEP_3)
	v_add_f32_e32 v12, v12, v15
	v_dual_sub_f32 v19, v37, v39 :: v_dual_fmac_f32 v14, 0xbf167918, v17
	s_delay_alu instid0(VALU_DEP_1) | instskip(NEXT) | instid1(VALU_DEP_4)
	v_add_f32_e32 v19, v19, v20
	v_fma_f32 v20, -0.5, v21, v0
	v_fma_f32 v0, v51, v35, -v22
	v_sub_f32_e32 v22, v39, v37
	v_sub_f32_e32 v23, v7, v15
	v_fmac_f32_e32 v14, 0x3e9e377a, v19
	v_fmamk_f32 v21, v17, 0x3f737871, v20
	v_fmac_f32_e32 v20, 0xbf737871, v17
	s_delay_alu instid0(VALU_DEP_4) | instskip(SKIP_1) | instid1(VALU_DEP_4)
	v_dual_fmac_f32 v13, 0x3f737871, v18 :: v_dual_add_f32 v22, v22, v23
	v_fma_f32 v23, -0.5, v25, v1
	v_fmac_f32_e32 v21, 0xbf167918, v18
	s_delay_alu instid0(VALU_DEP_3) | instskip(SKIP_2) | instid1(VALU_DEP_3)
	v_dual_fmac_f32 v20, 0x3f167918, v18 :: v_dual_fmac_f32 v13, 0x3f167918, v17
	v_dual_add_f32 v17, v24, v5 :: v_dual_add_f32 v18, v2, v10
	v_sub_f32_e32 v24, v2, v5
	v_dual_fmac_f32 v20, 0x3e9e377a, v22 :: v_dual_fmac_f32 v13, 0x3e9e377a, v19
	v_sub_f32_e32 v2, v5, v2
	v_sub_f32_e32 v5, v8, v10
	v_fmac_f32_e32 v21, 0x3e9e377a, v22
	v_fma_f32 v22, -0.5, v18, v1
	s_delay_alu instid0(VALU_DEP_3) | instskip(SKIP_3) | instid1(VALU_DEP_1)
	v_dual_add_f32 v17, v17, v8 :: v_dual_add_f32 v2, v2, v5
	v_sub_f32_e32 v7, v39, v7
	v_sub_f32_e32 v15, v37, v15
	v_dual_sub_f32 v25, v10, v8 :: v_dual_add_f32 v8, v36, v38
	v_dual_add_f32 v1, v24, v25 :: v_dual_fmamk_f32 v24, v7, 0xbf737871, v22
	s_delay_alu instid0(VALU_DEP_2) | instskip(SKIP_1) | instid1(VALU_DEP_3)
	v_add_f32_e32 v5, v8, v40
	v_sub_f32_e32 v8, v4, v0
	v_dual_sub_f32 v25, v40, v38 :: v_dual_fmac_f32 v24, 0x3f167918, v15
	s_delay_alu instid0(VALU_DEP_1) | instskip(SKIP_3) | instid1(VALU_DEP_3)
	v_fmac_f32_e32 v24, 0x3e9e377a, v2
	v_dual_fmamk_f32 v19, v15, 0x3f737871, v23 :: v_dual_fmac_f32 v22, 0x3f737871, v7
	v_add_f32_e32 v17, v17, v10
	v_fmac_f32_e32 v23, 0xbf737871, v15
	v_fmac_f32_e32 v19, 0x3f167918, v7
	s_delay_alu instid0(VALU_DEP_4) | instskip(NEXT) | instid1(VALU_DEP_3)
	v_dual_fmac_f32 v22, 0xbf167918, v15 :: v_dual_sub_f32 v15, v16, v9
	v_fmac_f32_e32 v23, 0xbf167918, v7
	s_delay_alu instid0(VALU_DEP_2) | instskip(SKIP_1) | instid1(VALU_DEP_1)
	v_dual_fmac_f32 v22, 0x3e9e377a, v2 :: v_dual_fmac_f32 v19, 0x3e9e377a, v1
	v_dual_sub_f32 v2, v38, v40 :: v_dual_add_f32 v7, v40, v9
	v_dual_add_f32 v2, v2, v15 :: v_dual_add_f32 v15, v25, v26
	s_delay_alu instid0(VALU_DEP_4) | instskip(SKIP_1) | instid1(VALU_DEP_4)
	v_fmac_f32_e32 v23, 0x3e9e377a, v1
	v_add_f32_e32 v1, v5, v9
	v_fma_f32 v5, -0.5, v7, v36
	s_delay_alu instid0(VALU_DEP_2) | instskip(SKIP_1) | instid1(VALU_DEP_1)
	v_dual_add_f32 v10, v1, v16 :: v_dual_sub_f32 v1, v6, v11
	v_add_f32_e32 v7, v38, v16
	v_dual_fmac_f32 v36, -0.5, v7 :: v_dual_fmamk_f32 v7, v8, 0xbf737871, v5
	s_delay_alu instid0(VALU_DEP_1) | instskip(SKIP_1) | instid1(VALU_DEP_2)
	v_dual_fmac_f32 v5, 0x3f737871, v8 :: v_dual_fmamk_f32 v18, v1, 0x3f737871, v36
	v_fmac_f32_e32 v36, 0xbf737871, v1
	v_fmac_f32_e32 v18, 0xbf167918, v8
	s_delay_alu instid0(VALU_DEP_2) | instskip(SKIP_3) | instid1(VALU_DEP_4)
	v_dual_fmac_f32 v36, 0x3f167918, v8 :: v_dual_fmac_f32 v5, 0x3f167918, v1
	v_dual_sub_f32 v8, v38, v16 :: v_dual_fmac_f32 v7, 0xbf167918, v1
	v_dual_add_f32 v16, v3, v4 :: v_dual_sub_f32 v9, v40, v9
	v_add_f32_e32 v1, v6, v11
	v_fmac_f32_e32 v5, 0x3e9e377a, v2
	v_sub_f32_e32 v27, v11, v0
	v_dual_fmac_f32 v7, 0x3e9e377a, v2 :: v_dual_add_f32 v2, v4, v0
	s_delay_alu instid0(VALU_DEP_4) | instskip(NEXT) | instid1(VALU_DEP_2)
	v_fma_f32 v1, -0.5, v1, v3
	v_fmac_f32_e32 v3, -0.5, v2
	v_sub_f32_e32 v2, v4, v6
	v_sub_f32_e32 v4, v6, v4
	v_add_f32_e32 v6, v16, v6
	s_delay_alu instid0(VALU_DEP_4) | instskip(NEXT) | instid1(VALU_DEP_3)
	v_fmamk_f32 v26, v9, 0xbf737871, v3
	v_add_f32_e32 v4, v4, v27
	s_delay_alu instid0(VALU_DEP_2) | instskip(SKIP_1) | instid1(VALU_DEP_2)
	v_fmac_f32_e32 v26, 0x3f167918, v8
	v_fmac_f32_e32 v3, 0x3f737871, v9
	v_dual_fmac_f32 v26, 0x3e9e377a, v4 :: v_dual_sub_f32 v25, v0, v11
	s_delay_alu instid0(VALU_DEP_1) | instskip(NEXT) | instid1(VALU_DEP_2)
	v_mul_f32_e32 v16, 0xbf737871, v26
	v_add_f32_e32 v2, v2, v25
	v_fmac_f32_e32 v18, 0x3e9e377a, v15
	v_fmac_f32_e32 v36, 0x3e9e377a, v15
	v_fmamk_f32 v15, v8, 0x3f737871, v1
	v_fmac_f32_e32 v1, 0xbf737871, v8
	s_delay_alu instid0(VALU_DEP_4) | instskip(NEXT) | instid1(VALU_DEP_3)
	v_fmac_f32_e32 v16, 0x3e9e377a, v18
	v_fmac_f32_e32 v15, 0x3f167918, v9
	s_delay_alu instid0(VALU_DEP_3) | instskip(NEXT) | instid1(VALU_DEP_1)
	v_fmac_f32_e32 v1, 0xbf167918, v9
	v_fmac_f32_e32 v1, 0x3e9e377a, v2
	s_delay_alu instid0(VALU_DEP_1) | instskip(NEXT) | instid1(VALU_DEP_1)
	v_dual_fmac_f32 v3, 0xbf167918, v8 :: v_dual_mul_f32 v28, 0xbf167918, v1
	v_dual_fmac_f32 v3, 0x3e9e377a, v4 :: v_dual_add_f32 v4, v6, v11
	s_delay_alu instid0(VALU_DEP_2) | instskip(NEXT) | instid1(VALU_DEP_2)
	v_fmac_f32_e32 v28, 0xbf4f1bbd, v5
	v_mul_f32_e32 v25, 0xbf737871, v3
	s_delay_alu instid0(VALU_DEP_3) | instskip(SKIP_1) | instid1(VALU_DEP_4)
	v_add_f32_e32 v27, v4, v0
	v_dual_add_f32 v4, v21, v16 :: v_dual_fmac_f32 v15, 0x3e9e377a, v2
	v_add_f32_e32 v8, v13, v28
	v_mul_f32_e32 v26, 0x3e9e377a, v26
	v_dual_mul_f32 v29, 0xbe9e377a, v3 :: v_dual_add_f32 v0, v12, v10
	s_delay_alu instid0(VALU_DEP_4) | instskip(SKIP_1) | instid1(VALU_DEP_3)
	v_mul_f32_e32 v11, 0xbf167918, v15
	v_mul_f32_e32 v15, 0x3f4f1bbd, v15
	v_dual_fmac_f32 v26, 0x3f737871, v18 :: v_dual_fmac_f32 v29, 0x3f737871, v36
	v_sub_f32_e32 v18, v13, v28
	v_fmac_f32_e32 v25, 0xbe9e377a, v36
	v_fmac_f32_e32 v11, 0x3f4f1bbd, v7
	v_dual_fmac_f32 v15, 0x3f167918, v7 :: v_dual_sub_f32 v10, v12, v10
	v_add_f32_e32 v7, v22, v29
	s_delay_alu instid0(VALU_DEP_4) | instskip(NEXT) | instid1(VALU_DEP_4)
	v_add_f32_e32 v6, v20, v25
	v_sub_f32_e32 v12, v14, v11
	s_delay_alu instid0(VALU_DEP_4) | instskip(SKIP_2) | instid1(VALU_DEP_3)
	v_dual_mul_f32 v30, 0xbf4f1bbd, v1 :: v_dual_add_f32 v3, v19, v15
	v_add_f32_e32 v2, v14, v11
	v_add_f32_e32 v1, v17, v27
	v_dual_sub_f32 v11, v17, v27 :: v_dual_fmac_f32 v30, 0x3f167918, v5
	v_dual_add_f32 v5, v24, v26 :: v_dual_sub_f32 v14, v21, v16
	v_sub_f32_e32 v13, v19, v15
	v_sub_f32_e32 v15, v24, v26
	s_delay_alu instid0(VALU_DEP_4)
	v_dual_add_f32 v9, v23, v30 :: v_dual_sub_f32 v16, v20, v25
	v_sub_f32_e32 v17, v22, v29
	v_sub_f32_e32 v19, v23, v30
	ds_store_2addr_b64 v73, v[0:1], v[2:3] offset1:17
	ds_store_2addr_b64 v73, v[4:5], v[6:7] offset0:34 offset1:51
	ds_store_2addr_b64 v73, v[8:9], v[10:11] offset0:68 offset1:85
	;; [unrolled: 1-line block ×4, first 2 shown]
	global_wb scope:SCOPE_SE
	s_wait_dscnt 0x0
	s_barrier_signal -1
	s_barrier_wait -1
	global_inv scope:SCOPE_SE
	s_and_b32 exec_lo, exec_lo, vcc_lo
	s_cbranch_execz .LBB0_15
; %bb.14:
	global_load_b64 v[0:1], v68, s[4:5]
	ds_load_b64 v[2:3], v73
	v_mad_co_u64_u32 v[6:7], null, s0, v70, 0
	s_mov_b32 s6, 0x18181818
	s_mov_b32 s7, 0x3f781818
	s_wait_loadcnt_dscnt 0x0
	v_mul_f32_e32 v4, v3, v1
	v_mul_f32_e32 v1, v2, v1
	s_delay_alu instid0(VALU_DEP_2) | instskip(NEXT) | instid1(VALU_DEP_2)
	v_fmac_f32_e32 v4, v2, v0
	v_fma_f32 v2, v0, v3, -v1
	s_delay_alu instid0(VALU_DEP_2) | instskip(NEXT) | instid1(VALU_DEP_2)
	v_cvt_f64_f32_e32 v[0:1], v4
	v_cvt_f64_f32_e32 v[2:3], v2
	v_mad_co_u64_u32 v[4:5], null, s2, v48, 0
	s_wait_alu 0xfffe
	s_delay_alu instid0(VALU_DEP_3) | instskip(NEXT) | instid1(VALU_DEP_3)
	v_mul_f64_e32 v[0:1], s[6:7], v[0:1]
	v_mul_f64_e32 v[2:3], s[6:7], v[2:3]
	s_delay_alu instid0(VALU_DEP_2) | instskip(NEXT) | instid1(VALU_DEP_2)
	v_cvt_f32_f64_e32 v0, v[0:1]
	v_cvt_f32_f64_e32 v1, v[2:3]
	v_dual_mov_b32 v3, v7 :: v_dual_mov_b32 v2, v5
	s_delay_alu instid0(VALU_DEP_1) | instskip(SKIP_2) | instid1(VALU_DEP_2)
	v_mad_co_u64_u32 v[7:8], null, s3, v48, v[2:3]
	v_mad_co_u64_u32 v[2:3], null, s1, v70, v[3:4]
	s_mul_u64 s[2:3], s[0:1], 0x50
	v_mov_b32_e32 v5, v7
	s_delay_alu instid0(VALU_DEP_2) | instskip(NEXT) | instid1(VALU_DEP_2)
	v_mov_b32_e32 v7, v2
	v_lshlrev_b64_e32 v[2:3], 3, v[4:5]
	s_delay_alu instid0(VALU_DEP_2) | instskip(NEXT) | instid1(VALU_DEP_2)
	v_lshlrev_b64_e32 v[4:5], 3, v[6:7]
	v_add_co_u32 v8, vcc_lo, s12, v2
	s_delay_alu instid0(VALU_DEP_3) | instskip(NEXT) | instid1(VALU_DEP_2)
	v_add_co_ci_u32_e32 v9, vcc_lo, s13, v3, vcc_lo
	v_add_co_u32 v4, vcc_lo, v8, v4
	s_wait_alu 0xfffd
	s_delay_alu instid0(VALU_DEP_2)
	v_add_co_ci_u32_e32 v5, vcc_lo, v9, v5, vcc_lo
	global_store_b64 v[4:5], v[0:1], off
	global_load_b64 v[6:7], v68, s[4:5] offset:80
	ds_load_2addr_b64 v[0:3], v73 offset0:10 offset1:20
	s_wait_alu 0xfffe
	v_add_co_u32 v4, vcc_lo, v4, s2
	s_wait_alu 0xfffd
	v_add_co_ci_u32_e32 v5, vcc_lo, s3, v5, vcc_lo
	s_wait_loadcnt_dscnt 0x0
	v_mul_f32_e32 v10, v1, v7
	v_mul_f32_e32 v7, v0, v7
	s_delay_alu instid0(VALU_DEP_2) | instskip(NEXT) | instid1(VALU_DEP_2)
	v_fmac_f32_e32 v10, v0, v6
	v_fma_f32 v6, v6, v1, -v7
	s_delay_alu instid0(VALU_DEP_2) | instskip(NEXT) | instid1(VALU_DEP_2)
	v_cvt_f64_f32_e32 v[0:1], v10
	v_cvt_f64_f32_e32 v[6:7], v6
	s_delay_alu instid0(VALU_DEP_2) | instskip(NEXT) | instid1(VALU_DEP_2)
	v_mul_f64_e32 v[0:1], s[6:7], v[0:1]
	v_mul_f64_e32 v[6:7], s[6:7], v[6:7]
	s_delay_alu instid0(VALU_DEP_2) | instskip(NEXT) | instid1(VALU_DEP_2)
	v_cvt_f32_f64_e32 v0, v[0:1]
	v_cvt_f32_f64_e32 v1, v[6:7]
	global_store_b64 v[4:5], v[0:1], off
	global_load_b64 v[0:1], v68, s[4:5] offset:160
	v_add_co_u32 v4, vcc_lo, v4, s2
	s_wait_alu 0xfffd
	v_add_co_ci_u32_e32 v5, vcc_lo, s3, v5, vcc_lo
	s_wait_loadcnt 0x0
	v_mul_f32_e32 v6, v3, v1
	v_mul_f32_e32 v1, v2, v1
	s_delay_alu instid0(VALU_DEP_2) | instskip(NEXT) | instid1(VALU_DEP_2)
	v_fmac_f32_e32 v6, v2, v0
	v_fma_f32 v2, v0, v3, -v1
	s_delay_alu instid0(VALU_DEP_2) | instskip(NEXT) | instid1(VALU_DEP_2)
	v_cvt_f64_f32_e32 v[0:1], v6
	v_cvt_f64_f32_e32 v[2:3], v2
	s_delay_alu instid0(VALU_DEP_2) | instskip(NEXT) | instid1(VALU_DEP_2)
	v_mul_f64_e32 v[0:1], s[6:7], v[0:1]
	v_mul_f64_e32 v[2:3], s[6:7], v[2:3]
	s_delay_alu instid0(VALU_DEP_2) | instskip(NEXT) | instid1(VALU_DEP_2)
	v_cvt_f32_f64_e32 v0, v[0:1]
	v_cvt_f32_f64_e32 v1, v[2:3]
	global_store_b64 v[4:5], v[0:1], off
	global_load_b64 v[6:7], v68, s[4:5] offset:240
	ds_load_2addr_b64 v[0:3], v73 offset0:30 offset1:40
	v_add_co_u32 v4, vcc_lo, v4, s2
	s_wait_alu 0xfffd
	v_add_co_ci_u32_e32 v5, vcc_lo, s3, v5, vcc_lo
	s_wait_loadcnt_dscnt 0x0
	v_mul_f32_e32 v10, v1, v7
	v_mul_f32_e32 v7, v0, v7
	s_delay_alu instid0(VALU_DEP_2) | instskip(NEXT) | instid1(VALU_DEP_2)
	v_fmac_f32_e32 v10, v0, v6
	v_fma_f32 v6, v6, v1, -v7
	s_delay_alu instid0(VALU_DEP_2) | instskip(NEXT) | instid1(VALU_DEP_2)
	v_cvt_f64_f32_e32 v[0:1], v10
	v_cvt_f64_f32_e32 v[6:7], v6
	s_delay_alu instid0(VALU_DEP_2) | instskip(NEXT) | instid1(VALU_DEP_2)
	v_mul_f64_e32 v[0:1], s[6:7], v[0:1]
	v_mul_f64_e32 v[6:7], s[6:7], v[6:7]
	s_delay_alu instid0(VALU_DEP_2) | instskip(NEXT) | instid1(VALU_DEP_2)
	v_cvt_f32_f64_e32 v0, v[0:1]
	v_cvt_f32_f64_e32 v1, v[6:7]
	global_store_b64 v[4:5], v[0:1], off
	global_load_b64 v[0:1], v68, s[4:5] offset:320
	v_add_co_u32 v4, vcc_lo, v4, s2
	s_wait_alu 0xfffd
	v_add_co_ci_u32_e32 v5, vcc_lo, s3, v5, vcc_lo
	s_wait_loadcnt 0x0
	v_mul_f32_e32 v6, v3, v1
	v_mul_f32_e32 v1, v2, v1
	s_delay_alu instid0(VALU_DEP_2) | instskip(NEXT) | instid1(VALU_DEP_2)
	v_fmac_f32_e32 v6, v2, v0
	v_fma_f32 v2, v0, v3, -v1
	s_delay_alu instid0(VALU_DEP_2) | instskip(NEXT) | instid1(VALU_DEP_2)
	v_cvt_f64_f32_e32 v[0:1], v6
	v_cvt_f64_f32_e32 v[2:3], v2
	s_delay_alu instid0(VALU_DEP_2) | instskip(NEXT) | instid1(VALU_DEP_2)
	v_mul_f64_e32 v[0:1], s[6:7], v[0:1]
	v_mul_f64_e32 v[2:3], s[6:7], v[2:3]
	s_delay_alu instid0(VALU_DEP_2) | instskip(NEXT) | instid1(VALU_DEP_2)
	v_cvt_f32_f64_e32 v0, v[0:1]
	v_cvt_f32_f64_e32 v1, v[2:3]
	global_store_b64 v[4:5], v[0:1], off
	global_load_b64 v[6:7], v68, s[4:5] offset:400
	ds_load_2addr_b64 v[0:3], v73 offset0:50 offset1:60
	;; [unrolled: 41-line block ×3, first 2 shown]
	v_add_co_u32 v4, vcc_lo, v4, s2
	s_wait_alu 0xfffd
	v_add_co_ci_u32_e32 v5, vcc_lo, s3, v5, vcc_lo
	s_wait_loadcnt_dscnt 0x0
	v_mul_f32_e32 v10, v1, v7
	v_mul_f32_e32 v7, v0, v7
	s_delay_alu instid0(VALU_DEP_2) | instskip(NEXT) | instid1(VALU_DEP_2)
	v_fmac_f32_e32 v10, v0, v6
	v_fma_f32 v6, v6, v1, -v7
	s_delay_alu instid0(VALU_DEP_2) | instskip(NEXT) | instid1(VALU_DEP_2)
	v_cvt_f64_f32_e32 v[0:1], v10
	v_cvt_f64_f32_e32 v[6:7], v6
	s_delay_alu instid0(VALU_DEP_2) | instskip(NEXT) | instid1(VALU_DEP_2)
	v_mul_f64_e32 v[0:1], s[6:7], v[0:1]
	v_mul_f64_e32 v[6:7], s[6:7], v[6:7]
	s_delay_alu instid0(VALU_DEP_2) | instskip(NEXT) | instid1(VALU_DEP_2)
	v_cvt_f32_f64_e32 v0, v[0:1]
	v_cvt_f32_f64_e32 v1, v[6:7]
	global_store_b64 v[4:5], v[0:1], off
	global_load_b64 v[0:1], v68, s[4:5] offset:640
	v_mad_co_u64_u32 v[4:5], null, 0xa0, s0, v[4:5]
	s_wait_loadcnt 0x0
	v_mul_f32_e32 v6, v3, v1
	v_mul_f32_e32 v1, v2, v1
	s_delay_alu instid0(VALU_DEP_2) | instskip(NEXT) | instid1(VALU_DEP_2)
	v_fmac_f32_e32 v6, v2, v0
	v_fma_f32 v2, v0, v3, -v1
	s_delay_alu instid0(VALU_DEP_2) | instskip(NEXT) | instid1(VALU_DEP_2)
	v_cvt_f64_f32_e32 v[0:1], v6
	v_cvt_f64_f32_e32 v[2:3], v2
	v_mad_co_u64_u32 v[6:7], null, s0, v69, 0
	s_delay_alu instid0(VALU_DEP_3) | instskip(NEXT) | instid1(VALU_DEP_3)
	v_mul_f64_e32 v[0:1], s[6:7], v[0:1]
	v_mul_f64_e32 v[2:3], s[6:7], v[2:3]
	s_delay_alu instid0(VALU_DEP_2) | instskip(NEXT) | instid1(VALU_DEP_2)
	v_cvt_f32_f64_e32 v0, v[0:1]
	v_cvt_f32_f64_e32 v1, v[2:3]
	v_mov_b32_e32 v2, v7
	s_delay_alu instid0(VALU_DEP_1) | instskip(NEXT) | instid1(VALU_DEP_1)
	v_mad_co_u64_u32 v[2:3], null, s1, v69, v[2:3]
	v_mov_b32_e32 v7, v2
	s_delay_alu instid0(VALU_DEP_1) | instskip(NEXT) | instid1(VALU_DEP_1)
	v_lshlrev_b64_e32 v[2:3], 3, v[6:7]
	v_add_co_u32 v2, vcc_lo, v8, v2
	s_wait_alu 0xfffd
	s_delay_alu instid0(VALU_DEP_2)
	v_add_co_ci_u32_e32 v3, vcc_lo, v9, v3, vcc_lo
	global_store_b64 v[2:3], v[0:1], off
	global_load_b64 v[6:7], v68, s[4:5] offset:720
	ds_load_2addr_b64 v[0:3], v73 offset0:90 offset1:100
	s_wait_loadcnt_dscnt 0x0
	v_mul_f32_e32 v10, v1, v7
	v_mul_f32_e32 v7, v0, v7
	s_delay_alu instid0(VALU_DEP_2) | instskip(NEXT) | instid1(VALU_DEP_2)
	v_fmac_f32_e32 v10, v0, v6
	v_fma_f32 v6, v6, v1, -v7
	s_delay_alu instid0(VALU_DEP_2) | instskip(NEXT) | instid1(VALU_DEP_2)
	v_cvt_f64_f32_e32 v[0:1], v10
	v_cvt_f64_f32_e32 v[6:7], v6
	s_delay_alu instid0(VALU_DEP_2) | instskip(NEXT) | instid1(VALU_DEP_2)
	v_mul_f64_e32 v[0:1], s[6:7], v[0:1]
	v_mul_f64_e32 v[6:7], s[6:7], v[6:7]
	s_delay_alu instid0(VALU_DEP_2) | instskip(NEXT) | instid1(VALU_DEP_2)
	v_cvt_f32_f64_e32 v0, v[0:1]
	v_cvt_f32_f64_e32 v1, v[6:7]
	v_mad_co_u64_u32 v[5:6], null, 0xa0, s1, v[5:6]
	global_store_b64 v[4:5], v[0:1], off
	global_load_b64 v[0:1], v68, s[4:5] offset:800
	v_add_co_u32 v4, vcc_lo, v4, s2
	s_wait_alu 0xfffd
	v_add_co_ci_u32_e32 v5, vcc_lo, s3, v5, vcc_lo
	s_wait_loadcnt 0x0
	v_mul_f32_e32 v6, v3, v1
	v_mul_f32_e32 v1, v2, v1
	s_delay_alu instid0(VALU_DEP_2) | instskip(NEXT) | instid1(VALU_DEP_2)
	v_fmac_f32_e32 v6, v2, v0
	v_fma_f32 v2, v0, v3, -v1
	s_delay_alu instid0(VALU_DEP_2) | instskip(NEXT) | instid1(VALU_DEP_2)
	v_cvt_f64_f32_e32 v[0:1], v6
	v_cvt_f64_f32_e32 v[2:3], v2
	s_delay_alu instid0(VALU_DEP_2) | instskip(NEXT) | instid1(VALU_DEP_2)
	v_mul_f64_e32 v[0:1], s[6:7], v[0:1]
	v_mul_f64_e32 v[2:3], s[6:7], v[2:3]
	s_delay_alu instid0(VALU_DEP_2) | instskip(NEXT) | instid1(VALU_DEP_2)
	v_cvt_f32_f64_e32 v0, v[0:1]
	v_cvt_f32_f64_e32 v1, v[2:3]
	global_store_b64 v[4:5], v[0:1], off
	global_load_b64 v[6:7], v68, s[4:5] offset:880
	ds_load_2addr_b64 v[0:3], v73 offset0:110 offset1:120
	v_add_co_u32 v4, vcc_lo, v4, s2
	s_wait_alu 0xfffd
	v_add_co_ci_u32_e32 v5, vcc_lo, s3, v5, vcc_lo
	s_wait_loadcnt_dscnt 0x0
	v_mul_f32_e32 v10, v1, v7
	v_mul_f32_e32 v7, v0, v7
	s_delay_alu instid0(VALU_DEP_2) | instskip(NEXT) | instid1(VALU_DEP_2)
	v_fmac_f32_e32 v10, v0, v6
	v_fma_f32 v6, v6, v1, -v7
	s_delay_alu instid0(VALU_DEP_2) | instskip(NEXT) | instid1(VALU_DEP_2)
	v_cvt_f64_f32_e32 v[0:1], v10
	v_cvt_f64_f32_e32 v[6:7], v6
	s_delay_alu instid0(VALU_DEP_2) | instskip(NEXT) | instid1(VALU_DEP_2)
	v_mul_f64_e32 v[0:1], s[6:7], v[0:1]
	v_mul_f64_e32 v[6:7], s[6:7], v[6:7]
	s_delay_alu instid0(VALU_DEP_2) | instskip(NEXT) | instid1(VALU_DEP_2)
	v_cvt_f32_f64_e32 v0, v[0:1]
	v_cvt_f32_f64_e32 v1, v[6:7]
	global_store_b64 v[4:5], v[0:1], off
	global_load_b64 v[0:1], v68, s[4:5] offset:960
	v_add_co_u32 v4, vcc_lo, v4, s2
	s_wait_alu 0xfffd
	v_add_co_ci_u32_e32 v5, vcc_lo, s3, v5, vcc_lo
	s_wait_loadcnt 0x0
	v_mul_f32_e32 v6, v3, v1
	v_mul_f32_e32 v1, v2, v1
	s_delay_alu instid0(VALU_DEP_2) | instskip(NEXT) | instid1(VALU_DEP_2)
	v_fmac_f32_e32 v6, v2, v0
	v_fma_f32 v2, v0, v3, -v1
	s_delay_alu instid0(VALU_DEP_2) | instskip(NEXT) | instid1(VALU_DEP_2)
	v_cvt_f64_f32_e32 v[0:1], v6
	v_cvt_f64_f32_e32 v[2:3], v2
	s_delay_alu instid0(VALU_DEP_2) | instskip(NEXT) | instid1(VALU_DEP_2)
	v_mul_f64_e32 v[0:1], s[6:7], v[0:1]
	v_mul_f64_e32 v[2:3], s[6:7], v[2:3]
	s_delay_alu instid0(VALU_DEP_2) | instskip(NEXT) | instid1(VALU_DEP_2)
	v_cvt_f32_f64_e32 v0, v[0:1]
	v_cvt_f32_f64_e32 v1, v[2:3]
	global_store_b64 v[4:5], v[0:1], off
	global_load_b64 v[6:7], v68, s[4:5] offset:1040
	ds_load_2addr_b64 v[0:3], v73 offset0:130 offset1:140
	v_add_co_u32 v4, vcc_lo, v4, s2
	s_wait_alu 0xfffd
	v_add_co_ci_u32_e32 v5, vcc_lo, s3, v5, vcc_lo
	s_wait_loadcnt_dscnt 0x0
	v_mul_f32_e32 v10, v1, v7
	v_mul_f32_e32 v7, v0, v7
	s_delay_alu instid0(VALU_DEP_2) | instskip(NEXT) | instid1(VALU_DEP_2)
	v_fmac_f32_e32 v10, v0, v6
	v_fma_f32 v6, v6, v1, -v7
	s_delay_alu instid0(VALU_DEP_2) | instskip(NEXT) | instid1(VALU_DEP_2)
	v_cvt_f64_f32_e32 v[0:1], v10
	v_cvt_f64_f32_e32 v[6:7], v6
	s_delay_alu instid0(VALU_DEP_2) | instskip(NEXT) | instid1(VALU_DEP_2)
	v_mul_f64_e32 v[0:1], s[6:7], v[0:1]
	v_mul_f64_e32 v[6:7], s[6:7], v[6:7]
	s_delay_alu instid0(VALU_DEP_2) | instskip(NEXT) | instid1(VALU_DEP_2)
	v_cvt_f32_f64_e32 v0, v[0:1]
	v_cvt_f32_f64_e32 v1, v[6:7]
	;; [unrolled: 41-line block ×3, first 2 shown]
	global_store_b64 v[4:5], v[0:1], off
	global_load_b64 v[0:1], v68, s[4:5] offset:1280
	s_wait_loadcnt 0x0
	v_mul_f32_e32 v4, v3, v1
	v_mul_f32_e32 v1, v2, v1
	s_delay_alu instid0(VALU_DEP_2) | instskip(NEXT) | instid1(VALU_DEP_2)
	v_fmac_f32_e32 v4, v2, v0
	v_fma_f32 v2, v0, v3, -v1
	s_delay_alu instid0(VALU_DEP_2) | instskip(NEXT) | instid1(VALU_DEP_2)
	v_cvt_f64_f32_e32 v[0:1], v4
	v_cvt_f64_f32_e32 v[2:3], v2
	v_mad_co_u64_u32 v[4:5], null, s0, v67, 0
	s_delay_alu instid0(VALU_DEP_3) | instskip(NEXT) | instid1(VALU_DEP_3)
	v_mul_f64_e32 v[0:1], s[6:7], v[0:1]
	v_mul_f64_e32 v[2:3], s[6:7], v[2:3]
	s_delay_alu instid0(VALU_DEP_2) | instskip(NEXT) | instid1(VALU_DEP_2)
	v_cvt_f32_f64_e32 v0, v[0:1]
	v_cvt_f32_f64_e32 v1, v[2:3]
	v_mov_b32_e32 v2, v5
	s_delay_alu instid0(VALU_DEP_1) | instskip(NEXT) | instid1(VALU_DEP_1)
	v_mad_co_u64_u32 v[2:3], null, s1, v67, v[2:3]
	v_mov_b32_e32 v5, v2
	s_delay_alu instid0(VALU_DEP_1) | instskip(NEXT) | instid1(VALU_DEP_1)
	v_lshlrev_b64_e32 v[2:3], 3, v[4:5]
	v_add_co_u32 v2, vcc_lo, v8, v2
	s_wait_alu 0xfffd
	s_delay_alu instid0(VALU_DEP_2)
	v_add_co_ci_u32_e32 v3, vcc_lo, v9, v3, vcc_lo
	global_store_b64 v[2:3], v[0:1], off
.LBB0_15:
	s_nop 0
	s_sendmsg sendmsg(MSG_DEALLOC_VGPRS)
	s_endpgm
	.section	.rodata,"a",@progbits
	.p2align	6, 0x0
	.amdhsa_kernel bluestein_single_back_len170_dim1_sp_op_CI_CI
		.amdhsa_group_segment_fixed_size 9520
		.amdhsa_private_segment_fixed_size 0
		.amdhsa_kernarg_size 104
		.amdhsa_user_sgpr_count 2
		.amdhsa_user_sgpr_dispatch_ptr 0
		.amdhsa_user_sgpr_queue_ptr 0
		.amdhsa_user_sgpr_kernarg_segment_ptr 1
		.amdhsa_user_sgpr_dispatch_id 0
		.amdhsa_user_sgpr_private_segment_size 0
		.amdhsa_wavefront_size32 1
		.amdhsa_uses_dynamic_stack 0
		.amdhsa_enable_private_segment 0
		.amdhsa_system_sgpr_workgroup_id_x 1
		.amdhsa_system_sgpr_workgroup_id_y 0
		.amdhsa_system_sgpr_workgroup_id_z 0
		.amdhsa_system_sgpr_workgroup_info 0
		.amdhsa_system_vgpr_workitem_id 0
		.amdhsa_next_free_vgpr 222
		.amdhsa_next_free_sgpr 14
		.amdhsa_reserve_vcc 1
		.amdhsa_float_round_mode_32 0
		.amdhsa_float_round_mode_16_64 0
		.amdhsa_float_denorm_mode_32 3
		.amdhsa_float_denorm_mode_16_64 3
		.amdhsa_fp16_overflow 0
		.amdhsa_workgroup_processor_mode 1
		.amdhsa_memory_ordered 1
		.amdhsa_forward_progress 0
		.amdhsa_round_robin_scheduling 0
		.amdhsa_exception_fp_ieee_invalid_op 0
		.amdhsa_exception_fp_denorm_src 0
		.amdhsa_exception_fp_ieee_div_zero 0
		.amdhsa_exception_fp_ieee_overflow 0
		.amdhsa_exception_fp_ieee_underflow 0
		.amdhsa_exception_fp_ieee_inexact 0
		.amdhsa_exception_int_div_zero 0
	.end_amdhsa_kernel
	.text
.Lfunc_end0:
	.size	bluestein_single_back_len170_dim1_sp_op_CI_CI, .Lfunc_end0-bluestein_single_back_len170_dim1_sp_op_CI_CI
                                        ; -- End function
	.section	.AMDGPU.csdata,"",@progbits
; Kernel info:
; codeLenInByte = 18144
; NumSgprs: 16
; NumVgprs: 222
; ScratchSize: 0
; MemoryBound: 0
; FloatMode: 240
; IeeeMode: 1
; LDSByteSize: 9520 bytes/workgroup (compile time only)
; SGPRBlocks: 1
; VGPRBlocks: 27
; NumSGPRsForWavesPerEU: 16
; NumVGPRsForWavesPerEU: 222
; Occupancy: 6
; WaveLimiterHint : 1
; COMPUTE_PGM_RSRC2:SCRATCH_EN: 0
; COMPUTE_PGM_RSRC2:USER_SGPR: 2
; COMPUTE_PGM_RSRC2:TRAP_HANDLER: 0
; COMPUTE_PGM_RSRC2:TGID_X_EN: 1
; COMPUTE_PGM_RSRC2:TGID_Y_EN: 0
; COMPUTE_PGM_RSRC2:TGID_Z_EN: 0
; COMPUTE_PGM_RSRC2:TIDIG_COMP_CNT: 0
	.text
	.p2alignl 7, 3214868480
	.fill 96, 4, 3214868480
	.type	__hip_cuid_b4f0fcb1a4f3e746,@object ; @__hip_cuid_b4f0fcb1a4f3e746
	.section	.bss,"aw",@nobits
	.globl	__hip_cuid_b4f0fcb1a4f3e746
__hip_cuid_b4f0fcb1a4f3e746:
	.byte	0                               ; 0x0
	.size	__hip_cuid_b4f0fcb1a4f3e746, 1

	.ident	"AMD clang version 19.0.0git (https://github.com/RadeonOpenCompute/llvm-project roc-6.4.0 25133 c7fe45cf4b819c5991fe208aaa96edf142730f1d)"
	.section	".note.GNU-stack","",@progbits
	.addrsig
	.addrsig_sym __hip_cuid_b4f0fcb1a4f3e746
	.amdgpu_metadata
---
amdhsa.kernels:
  - .args:
      - .actual_access:  read_only
        .address_space:  global
        .offset:         0
        .size:           8
        .value_kind:     global_buffer
      - .actual_access:  read_only
        .address_space:  global
        .offset:         8
        .size:           8
        .value_kind:     global_buffer
      - .actual_access:  read_only
        .address_space:  global
        .offset:         16
        .size:           8
        .value_kind:     global_buffer
      - .actual_access:  read_only
        .address_space:  global
        .offset:         24
        .size:           8
        .value_kind:     global_buffer
      - .actual_access:  read_only
        .address_space:  global
        .offset:         32
        .size:           8
        .value_kind:     global_buffer
      - .offset:         40
        .size:           8
        .value_kind:     by_value
      - .address_space:  global
        .offset:         48
        .size:           8
        .value_kind:     global_buffer
      - .address_space:  global
        .offset:         56
        .size:           8
        .value_kind:     global_buffer
      - .address_space:  global
        .offset:         64
        .size:           8
        .value_kind:     global_buffer
      - .address_space:  global
        .offset:         72
        .size:           8
        .value_kind:     global_buffer
      - .offset:         80
        .size:           4
        .value_kind:     by_value
      - .address_space:  global
        .offset:         88
        .size:           8
        .value_kind:     global_buffer
      - .address_space:  global
        .offset:         96
        .size:           8
        .value_kind:     global_buffer
    .group_segment_fixed_size: 9520
    .kernarg_segment_align: 8
    .kernarg_segment_size: 104
    .language:       OpenCL C
    .language_version:
      - 2
      - 0
    .max_flat_workgroup_size: 119
    .name:           bluestein_single_back_len170_dim1_sp_op_CI_CI
    .private_segment_fixed_size: 0
    .sgpr_count:     16
    .sgpr_spill_count: 0
    .symbol:         bluestein_single_back_len170_dim1_sp_op_CI_CI.kd
    .uniform_work_group_size: 1
    .uses_dynamic_stack: false
    .vgpr_count:     222
    .vgpr_spill_count: 0
    .wavefront_size: 32
    .workgroup_processor_mode: 1
amdhsa.target:   amdgcn-amd-amdhsa--gfx1201
amdhsa.version:
  - 1
  - 2
...

	.end_amdgpu_metadata
